;; amdgpu-corpus repo=ROCm/rocFFT kind=compiled arch=gfx906 opt=O3
	.text
	.amdgcn_target "amdgcn-amd-amdhsa--gfx906"
	.amdhsa_code_object_version 6
	.protected	fft_rtc_back_len289_factors_17_17_wgs_119_tpt_17_half_ip_CI_sbcc_twdbase8_3step ; -- Begin function fft_rtc_back_len289_factors_17_17_wgs_119_tpt_17_half_ip_CI_sbcc_twdbase8_3step
	.globl	fft_rtc_back_len289_factors_17_17_wgs_119_tpt_17_half_ip_CI_sbcc_twdbase8_3step
	.p2align	8
	.type	fft_rtc_back_len289_factors_17_17_wgs_119_tpt_17_half_ip_CI_sbcc_twdbase8_3step,@function
fft_rtc_back_len289_factors_17_17_wgs_119_tpt_17_half_ip_CI_sbcc_twdbase8_3step: ; @fft_rtc_back_len289_factors_17_17_wgs_119_tpt_17_half_ip_CI_sbcc_twdbase8_3step
; %bb.0:
	s_load_dwordx4 s[0:3], s[4:5], 0x18
	s_mov_b32 s7, 0
	s_mov_b64 s[24:25], 0
	s_waitcnt lgkmcnt(0)
	s_load_dwordx2 s[20:21], s[0:1], 0x8
	s_waitcnt lgkmcnt(0)
	s_add_u32 s8, s20, -1
	s_addc_u32 s9, s21, -1
	s_add_u32 s10, 0, 0x92481000
	s_addc_u32 s11, 0, 0x64
	s_mul_hi_u32 s13, s10, -7
	s_add_i32 s11, s11, 0x249248c0
	s_sub_i32 s13, s13, s10
	s_mul_i32 s16, s11, -7
	s_mul_i32 s12, s10, -7
	s_add_i32 s13, s13, s16
	s_mul_hi_u32 s14, s11, s12
	s_mul_i32 s15, s11, s12
	s_mul_i32 s17, s10, s13
	s_mul_hi_u32 s12, s10, s12
	s_mul_hi_u32 s16, s10, s13
	s_add_u32 s12, s12, s17
	s_addc_u32 s16, 0, s16
	s_add_u32 s12, s12, s15
	s_mul_hi_u32 s17, s11, s13
	s_addc_u32 s12, s16, s14
	s_addc_u32 s14, s17, 0
	s_mul_i32 s13, s11, s13
	s_add_u32 s12, s12, s13
	v_mov_b32_e32 v1, s12
	s_addc_u32 s13, 0, s14
	v_add_co_u32_e32 v1, vcc, s10, v1
	s_cmp_lg_u64 vcc, 0
	s_addc_u32 s10, s11, s13
	v_readfirstlane_b32 s13, v1
	s_mul_i32 s12, s8, s10
	s_mul_hi_u32 s14, s8, s13
	s_mul_hi_u32 s11, s8, s10
	s_add_u32 s12, s14, s12
	s_addc_u32 s11, 0, s11
	s_mul_hi_u32 s15, s9, s13
	s_mul_i32 s13, s9, s13
	s_add_u32 s12, s12, s13
	s_mul_hi_u32 s14, s9, s10
	s_addc_u32 s11, s11, s15
	s_addc_u32 s12, s14, 0
	s_mul_i32 s10, s9, s10
	s_add_u32 s10, s11, s10
	s_addc_u32 s11, 0, s12
	s_add_u32 s12, s10, 1
	s_addc_u32 s13, s11, 0
	s_add_u32 s14, s10, 2
	s_mul_i32 s16, s11, 7
	s_mul_hi_u32 s17, s10, 7
	s_addc_u32 s15, s11, 0
	s_add_i32 s17, s17, s16
	s_mul_i32 s16, s10, 7
	v_mov_b32_e32 v1, s16
	v_sub_co_u32_e32 v1, vcc, s8, v1
	s_cmp_lg_u64 vcc, 0
	s_subb_u32 s8, s9, s17
	v_subrev_co_u32_e32 v2, vcc, 7, v1
	s_cmp_lg_u64 vcc, 0
	s_subb_u32 s9, s8, 0
	v_readfirstlane_b32 s16, v2
	s_cmp_gt_u32 s16, 6
	s_cselect_b32 s16, -1, 0
	s_cmp_eq_u32 s9, 0
	s_cselect_b32 s9, s16, -1
	s_cmp_lg_u32 s9, 0
	s_cselect_b32 s9, s14, s12
	s_cselect_b32 s12, s15, s13
	v_readfirstlane_b32 s13, v1
	s_cmp_gt_u32 s13, 6
	s_cselect_b32 s13, -1, 0
	s_cmp_eq_u32 s8, 0
	s_cselect_b32 s8, s13, -1
	s_cmp_lg_u32 s8, 0
	s_cselect_b32 s9, s9, s10
	s_cselect_b32 s8, s12, s11
	s_add_u32 s22, s9, 1
	s_addc_u32 s23, s8, 0
	v_mov_b32_e32 v1, s22
	v_mov_b32_e32 v2, s23
	v_cmp_lt_u64_e32 vcc, s[6:7], v[1:2]
	s_cbranch_vccnz .LBB0_2
; %bb.1:
	v_cvt_f32_u32_e32 v1, s22
	s_sub_i32 s8, 0, s22
	s_mov_b32 s25, s7
	v_rcp_iflag_f32_e32 v1, v1
	v_mul_f32_e32 v1, 0x4f7ffffe, v1
	v_cvt_u32_f32_e32 v1, v1
	v_readfirstlane_b32 s9, v1
	s_mul_i32 s8, s8, s9
	s_mul_hi_u32 s8, s9, s8
	s_add_i32 s9, s9, s8
	s_mul_hi_u32 s8, s6, s9
	s_mul_i32 s10, s8, s22
	s_sub_i32 s10, s6, s10
	s_add_i32 s9, s8, 1
	s_sub_i32 s11, s10, s22
	s_cmp_ge_u32 s10, s22
	s_cselect_b32 s8, s9, s8
	s_cselect_b32 s10, s11, s10
	s_add_i32 s9, s8, 1
	s_cmp_ge_u32 s10, s22
	s_cselect_b32 s24, s9, s8
.LBB0_2:
	s_load_dwordx2 s[16:17], s[4:5], 0x58
	s_load_dwordx4 s[8:11], s[2:3], 0x0
	s_load_dwordx2 s[18:19], s[4:5], 0x0
	s_load_dwordx4 s[12:15], s[4:5], 0x8
	s_mul_i32 s4, s24, s23
	s_mul_hi_u32 s5, s24, s22
	s_add_i32 s5, s5, s4
	s_mul_i32 s4, s24, s22
	s_sub_u32 s38, s6, s4
	s_subb_u32 s4, 0, s5
	s_mul_i32 s4, s4, 7
	s_mul_hi_u32 s33, s38, 7
	s_add_i32 s33, s33, s4
	s_mul_i32 s38, s38, 7
	s_waitcnt lgkmcnt(0)
	s_mul_i32 s4, s10, s33
	s_mul_hi_u32 s5, s10, s38
	s_add_i32 s4, s5, s4
	s_mul_i32 s5, s11, s38
	s_add_i32 s39, s4, s5
	v_cmp_lt_u64_e64 s[4:5], s[14:15], 3
	s_mul_i32 s40, s10, s38
	s_and_b64 vcc, exec, s[4:5]
	s_cbranch_vccnz .LBB0_12
; %bb.3:
	s_add_u32 s4, s2, 16
	s_addc_u32 s5, s3, 0
	s_add_u32 s26, s0, 16
	v_mov_b32_e32 v1, s14
	s_addc_u32 s27, s1, 0
	s_mov_b64 s[28:29], 2
	s_mov_b32 s30, 0
	v_mov_b32_e32 v2, s15
.LBB0_4:                                ; =>This Inner Loop Header: Depth=1
	s_load_dwordx2 s[34:35], s[26:27], 0x0
	s_waitcnt lgkmcnt(0)
	s_or_b64 s[0:1], s[24:25], s[34:35]
	s_mov_b32 s31, s1
	s_cmp_lg_u64 s[30:31], 0
	s_cbranch_scc0 .LBB0_9
; %bb.5:                                ;   in Loop: Header=BB0_4 Depth=1
	v_cvt_f32_u32_e32 v3, s34
	v_cvt_f32_u32_e32 v4, s35
	s_sub_u32 s0, 0, s34
	s_subb_u32 s1, 0, s35
	v_mac_f32_e32 v3, 0x4f800000, v4
	v_rcp_f32_e32 v3, v3
	v_mul_f32_e32 v3, 0x5f7ffffc, v3
	v_mul_f32_e32 v4, 0x2f800000, v3
	v_trunc_f32_e32 v4, v4
	v_mac_f32_e32 v3, 0xcf800000, v4
	v_cvt_u32_f32_e32 v4, v4
	v_cvt_u32_f32_e32 v3, v3
	v_readfirstlane_b32 s31, v4
	v_readfirstlane_b32 s36, v3
	s_mul_i32 s37, s0, s31
	s_mul_hi_u32 s42, s0, s36
	s_mul_i32 s41, s1, s36
	s_add_i32 s37, s42, s37
	s_mul_i32 s43, s0, s36
	s_add_i32 s37, s37, s41
	s_mul_hi_u32 s41, s36, s37
	s_mul_i32 s42, s36, s37
	s_mul_hi_u32 s36, s36, s43
	s_add_u32 s36, s36, s42
	s_addc_u32 s41, 0, s41
	s_mul_hi_u32 s44, s31, s43
	s_mul_i32 s43, s31, s43
	s_add_u32 s36, s36, s43
	s_mul_hi_u32 s42, s31, s37
	s_addc_u32 s36, s41, s44
	s_addc_u32 s41, s42, 0
	s_mul_i32 s37, s31, s37
	s_add_u32 s36, s36, s37
	s_addc_u32 s37, 0, s41
	v_add_co_u32_e32 v3, vcc, s36, v3
	s_cmp_lg_u64 vcc, 0
	s_addc_u32 s31, s31, s37
	v_readfirstlane_b32 s37, v3
	s_mul_i32 s36, s0, s31
	s_mul_hi_u32 s41, s0, s37
	s_add_i32 s36, s41, s36
	s_mul_i32 s1, s1, s37
	s_add_i32 s36, s36, s1
	s_mul_i32 s0, s0, s37
	s_mul_hi_u32 s41, s31, s0
	s_mul_i32 s42, s31, s0
	s_mul_i32 s44, s37, s36
	s_mul_hi_u32 s0, s37, s0
	s_mul_hi_u32 s43, s37, s36
	s_add_u32 s0, s0, s44
	s_addc_u32 s37, 0, s43
	s_add_u32 s0, s0, s42
	s_mul_hi_u32 s1, s31, s36
	s_addc_u32 s0, s37, s41
	s_addc_u32 s1, s1, 0
	s_mul_i32 s36, s31, s36
	s_add_u32 s0, s0, s36
	s_addc_u32 s1, 0, s1
	v_add_co_u32_e32 v3, vcc, s0, v3
	s_cmp_lg_u64 vcc, 0
	s_addc_u32 s0, s31, s1
	v_readfirstlane_b32 s36, v3
	s_mul_i32 s31, s24, s0
	s_mul_hi_u32 s37, s24, s36
	s_mul_hi_u32 s1, s24, s0
	s_add_u32 s31, s37, s31
	s_addc_u32 s1, 0, s1
	s_mul_hi_u32 s41, s25, s36
	s_mul_i32 s36, s25, s36
	s_add_u32 s31, s31, s36
	s_mul_hi_u32 s37, s25, s0
	s_addc_u32 s1, s1, s41
	s_addc_u32 s31, s37, 0
	s_mul_i32 s0, s25, s0
	s_add_u32 s36, s1, s0
	s_addc_u32 s31, 0, s31
	s_mul_i32 s0, s34, s31
	s_mul_hi_u32 s1, s34, s36
	s_add_i32 s0, s1, s0
	s_mul_i32 s1, s35, s36
	s_add_i32 s37, s0, s1
	s_mul_i32 s1, s34, s36
	v_mov_b32_e32 v3, s1
	s_sub_i32 s0, s25, s37
	v_sub_co_u32_e32 v3, vcc, s24, v3
	s_cmp_lg_u64 vcc, 0
	s_subb_u32 s41, s0, s35
	v_subrev_co_u32_e64 v4, s[0:1], s34, v3
	s_cmp_lg_u64 s[0:1], 0
	s_subb_u32 s0, s41, 0
	s_cmp_ge_u32 s0, s35
	v_readfirstlane_b32 s41, v4
	s_cselect_b32 s1, -1, 0
	s_cmp_ge_u32 s41, s34
	s_cselect_b32 s41, -1, 0
	s_cmp_eq_u32 s0, s35
	s_cselect_b32 s0, s41, s1
	s_add_u32 s1, s36, 1
	s_addc_u32 s41, s31, 0
	s_add_u32 s42, s36, 2
	s_addc_u32 s43, s31, 0
	s_cmp_lg_u32 s0, 0
	s_cselect_b32 s0, s42, s1
	s_cselect_b32 s1, s43, s41
	s_cmp_lg_u64 vcc, 0
	s_subb_u32 s37, s25, s37
	s_cmp_ge_u32 s37, s35
	v_readfirstlane_b32 s42, v3
	s_cselect_b32 s41, -1, 0
	s_cmp_ge_u32 s42, s34
	s_cselect_b32 s42, -1, 0
	s_cmp_eq_u32 s37, s35
	s_cselect_b32 s37, s42, s41
	s_cmp_lg_u32 s37, 0
	s_cselect_b32 s1, s1, s31
	s_cselect_b32 s0, s0, s36
	s_cbranch_execnz .LBB0_7
.LBB0_6:                                ;   in Loop: Header=BB0_4 Depth=1
	v_cvt_f32_u32_e32 v3, s34
	s_sub_i32 s0, 0, s34
	v_rcp_iflag_f32_e32 v3, v3
	v_mul_f32_e32 v3, 0x4f7ffffe, v3
	v_cvt_u32_f32_e32 v3, v3
	v_readfirstlane_b32 s1, v3
	s_mul_i32 s0, s0, s1
	s_mul_hi_u32 s0, s1, s0
	s_add_i32 s1, s1, s0
	s_mul_hi_u32 s0, s24, s1
	s_mul_i32 s31, s0, s34
	s_sub_i32 s31, s24, s31
	s_add_i32 s1, s0, 1
	s_sub_i32 s36, s31, s34
	s_cmp_ge_u32 s31, s34
	s_cselect_b32 s0, s1, s0
	s_cselect_b32 s31, s36, s31
	s_add_i32 s1, s0, 1
	s_cmp_ge_u32 s31, s34
	s_cselect_b32 s0, s1, s0
	s_mov_b32 s1, s30
.LBB0_7:                                ;   in Loop: Header=BB0_4 Depth=1
	s_mul_i32 s23, s34, s23
	s_mul_hi_u32 s31, s34, s22
	s_add_i32 s23, s31, s23
	s_mul_i32 s31, s35, s22
	s_add_i32 s23, s23, s31
	s_mul_i32 s31, s0, s35
	s_mul_hi_u32 s35, s0, s34
	s_load_dwordx2 s[36:37], s[4:5], 0x0
	s_add_i32 s31, s35, s31
	s_mul_i32 s35, s1, s34
	s_mul_i32 s22, s34, s22
	s_add_i32 s31, s31, s35
	s_mul_i32 s34, s0, s34
	s_sub_u32 s24, s24, s34
	s_subb_u32 s25, s25, s31
	s_waitcnt lgkmcnt(0)
	s_mul_i32 s25, s36, s25
	s_mul_hi_u32 s31, s36, s24
	s_add_i32 s25, s31, s25
	s_mul_i32 s31, s37, s24
	s_add_i32 s25, s25, s31
	s_mul_i32 s24, s36, s24
	s_add_u32 s40, s24, s40
	s_addc_u32 s39, s25, s39
	s_add_u32 s28, s28, 1
	s_addc_u32 s29, s29, 0
	;; [unrolled: 2-line block ×3, first 2 shown]
	v_cmp_ge_u64_e32 vcc, s[28:29], v[1:2]
	s_add_u32 s26, s26, 8
	s_addc_u32 s27, s27, 0
	s_cbranch_vccnz .LBB0_10
; %bb.8:                                ;   in Loop: Header=BB0_4 Depth=1
	s_mov_b64 s[24:25], s[0:1]
	s_branch .LBB0_4
.LBB0_9:                                ;   in Loop: Header=BB0_4 Depth=1
                                        ; implicit-def: $sgpr0_sgpr1
	s_branch .LBB0_6
.LBB0_10:
	v_mov_b32_e32 v1, s22
	v_mov_b32_e32 v2, s23
	v_cmp_lt_u64_e32 vcc, s[6:7], v[1:2]
	s_mov_b64 s[24:25], 0
	s_cbranch_vccnz .LBB0_12
; %bb.11:
	v_cvt_f32_u32_e32 v1, s22
	s_sub_i32 s0, 0, s22
	v_rcp_iflag_f32_e32 v1, v1
	v_mul_f32_e32 v1, 0x4f7ffffe, v1
	v_cvt_u32_f32_e32 v1, v1
	v_readfirstlane_b32 s1, v1
	s_mul_i32 s0, s0, s1
	s_mul_hi_u32 s0, s1, s0
	s_add_i32 s1, s1, s0
	s_mul_hi_u32 s0, s6, s1
	s_mul_i32 s4, s0, s22
	s_sub_i32 s4, s6, s4
	s_add_i32 s1, s0, 1
	s_sub_i32 s5, s4, s22
	s_cmp_ge_u32 s4, s22
	s_cselect_b32 s0, s1, s0
	s_cselect_b32 s4, s5, s4
	s_add_i32 s1, s0, 1
	s_cmp_ge_u32 s4, s22
	s_cselect_b32 s24, s1, s0
.LBB0_12:
	s_lshl_b64 s[0:1], s[14:15], 3
	s_add_u32 s0, s2, s0
	s_addc_u32 s1, s3, s1
	s_load_dwordx2 s[0:1], s[0:1], 0x0
	v_mov_b32_e32 v1, s20
	v_mul_u32_u24_e32 v3, 0x2493, v0
	v_mov_b32_e32 v2, s21
	v_lshrrev_b32_e32 v12, 16, v3
	s_waitcnt lgkmcnt(0)
	s_mul_i32 s1, s1, s24
	s_mul_hi_u32 s2, s0, s24
	s_mul_i32 s0, s0, s24
	s_add_i32 s1, s2, s1
	s_add_u32 s2, s0, s40
	s_addc_u32 s3, s1, s39
	s_add_u32 s0, s38, 7
	s_addc_u32 s1, s33, 0
	v_cmp_le_u64_e32 vcc, s[0:1], v[1:2]
	v_mul_lo_u16_e32 v1, 7, v12
	v_sub_u16_e32 v16, v0, v1
	v_mov_b32_e32 v2, s33
	v_add_co_u32_e64 v1, s[0:1], s38, v16
	v_addc_co_u32_e64 v2, s[0:1], 0, v2, s[0:1]
	v_cmp_gt_u64_e64 s[0:1], s[20:21], v[1:2]
	s_mov_b32 s39, 0xffff
	s_or_b64 s[0:1], vcc, s[0:1]
	v_lshlrev_b32_e32 v17, 2, v12
	v_add_u32_e32 v15, 17, v12
	v_add_u32_e32 v14, 34, v12
	;; [unrolled: 1-line block ×3, first 2 shown]
	s_and_saveexec_b64 s[4:5], s[0:1]
	s_cbranch_execz .LBB0_14
; %bb.13:
	v_mad_u64_u32 v[1:2], s[6:7], s10, v16, 0
	v_mad_u64_u32 v[3:4], s[6:7], s8, v12, 0
	v_add_u32_e32 v11, 0x44, v12
	v_add_u32_e32 v20, 0x55, v12
	v_mad_u64_u32 v[5:6], s[6:7], s11, v16, v[2:3]
	v_mov_b32_e32 v2, v4
	v_mad_u64_u32 v[6:7], s[6:7], s9, v12, v[2:3]
	s_lshl_b64 s[6:7], s[2:3], 2
	s_add_u32 s14, s16, s6
	s_addc_u32 s6, s17, s7
	v_mov_b32_e32 v2, v5
	v_mov_b32_e32 v4, v6
	v_mov_b32_e32 v7, s6
	v_mad_u64_u32 v[5:6], s[6:7], s8, v15, 0
	v_lshlrev_b64 v[1:2], 2, v[1:2]
	v_mad_u64_u32 v[9:10], s[6:7], s8, v13, 0
	v_add_co_u32_e32 v42, vcc, s14, v1
	v_addc_co_u32_e32 v43, vcc, v7, v2, vcc
	v_lshlrev_b64 v[1:2], 2, v[3:4]
	v_mov_b32_e32 v3, v6
	v_mad_u64_u32 v[3:4], s[6:7], s9, v15, v[3:4]
	v_mad_u64_u32 v[7:8], s[6:7], s8, v14, 0
	v_mov_b32_e32 v6, v3
	v_lshlrev_b64 v[3:4], 2, v[5:6]
	v_mov_b32_e32 v5, v8
	v_mad_u64_u32 v[5:6], s[6:7], s9, v14, v[5:6]
	v_mad_u64_u32 v[18:19], s[6:7], s8, v11, 0
	v_mov_b32_e32 v8, v5
	v_lshlrev_b64 v[5:6], 2, v[7:8]
	v_mov_b32_e32 v7, v10
	v_mad_u64_u32 v[7:8], s[6:7], s9, v13, v[7:8]
	v_add_u32_e32 v23, 0x66, v12
	v_add_u32_e32 v25, 0x77, v12
	v_mov_b32_e32 v10, v7
	v_lshlrev_b64 v[7:8], 2, v[9:10]
	v_mov_b32_e32 v9, v19
	v_mad_u64_u32 v[9:10], s[6:7], s9, v11, v[9:10]
	v_mad_u64_u32 v[10:11], s[6:7], s8, v20, 0
	v_mov_b32_e32 v19, v9
	v_add_u32_e32 v27, 0x88, v12
	v_mov_b32_e32 v9, v11
	v_mad_u64_u32 v[20:21], s[6:7], s9, v20, v[9:10]
	v_mad_u64_u32 v[21:22], s[6:7], s8, v23, 0
	v_mov_b32_e32 v11, v20
	v_lshlrev_b64 v[9:10], 2, v[10:11]
	v_mov_b32_e32 v11, v22
	v_mad_u64_u32 v[22:23], s[6:7], s9, v23, v[11:12]
	v_mad_u64_u32 v[23:24], s[6:7], s8, v25, 0
	v_add_u32_e32 v29, 0x99, v12
	v_add_u32_e32 v31, 0xaa, v12
	v_mov_b32_e32 v11, v24
	v_mad_u64_u32 v[24:25], s[6:7], s9, v25, v[11:12]
	v_mad_u64_u32 v[25:26], s[6:7], s8, v27, 0
	v_add_u32_e32 v33, 0xbb, v12
	v_add_u32_e32 v35, 0xcc, v12
	v_mov_b32_e32 v11, v26
	v_mad_u64_u32 v[26:27], s[6:7], s9, v27, v[11:12]
	v_mad_u64_u32 v[27:28], s[6:7], s8, v29, 0
	v_add_co_u32_e32 v1, vcc, v42, v1
	v_mov_b32_e32 v11, v28
	v_mad_u64_u32 v[28:29], s[6:7], s9, v29, v[11:12]
	v_mad_u64_u32 v[29:30], s[6:7], s8, v31, 0
	v_addc_co_u32_e32 v2, vcc, v43, v2, vcc
	v_mov_b32_e32 v11, v30
	v_mad_u64_u32 v[30:31], s[6:7], s9, v31, v[11:12]
	v_mad_u64_u32 v[31:32], s[6:7], s8, v33, 0
	v_add_co_u32_e32 v3, vcc, v42, v3
	v_mov_b32_e32 v11, v32
	v_mad_u64_u32 v[32:33], s[6:7], s9, v33, v[11:12]
	v_mad_u64_u32 v[33:34], s[6:7], s8, v35, 0
	v_addc_co_u32_e32 v4, vcc, v43, v4, vcc
	v_mov_b32_e32 v11, v34
	v_mad_u64_u32 v[34:35], s[6:7], s9, v35, v[11:12]
	v_add_u32_e32 v37, 0xdd, v12
	v_add_co_u32_e32 v5, vcc, v42, v5
	v_mad_u64_u32 v[35:36], s[6:7], s8, v37, 0
	v_addc_co_u32_e32 v6, vcc, v43, v6, vcc
	v_add_co_u32_e32 v7, vcc, v42, v7
	v_lshlrev_b64 v[18:19], 2, v[18:19]
	v_addc_co_u32_e32 v8, vcc, v43, v8, vcc
	v_add_co_u32_e32 v18, vcc, v42, v18
	v_mov_b32_e32 v11, v36
	v_addc_co_u32_e32 v19, vcc, v43, v19, vcc
	v_mad_u64_u32 v[36:37], s[6:7], s9, v37, v[11:12]
	v_add_u32_e32 v39, 0xee, v12
	v_add_co_u32_e32 v9, vcc, v42, v9
	v_lshlrev_b64 v[20:21], 2, v[21:22]
	v_mad_u64_u32 v[37:38], s[6:7], s8, v39, 0
	v_addc_co_u32_e32 v10, vcc, v43, v10, vcc
	v_add_co_u32_e32 v20, vcc, v42, v20
	v_lshlrev_b64 v[22:23], 2, v[23:24]
	v_addc_co_u32_e32 v21, vcc, v43, v21, vcc
	v_add_co_u32_e32 v22, vcc, v42, v22
	v_lshlrev_b64 v[24:25], 2, v[25:26]
	v_mov_b32_e32 v11, v38
	v_addc_co_u32_e32 v23, vcc, v43, v23, vcc
	v_mad_u64_u32 v[38:39], s[6:7], s9, v39, v[11:12]
	v_add_u32_e32 v41, 0xff, v12
	v_add_co_u32_e32 v24, vcc, v42, v24
	v_lshlrev_b64 v[26:27], 2, v[27:28]
	v_mad_u64_u32 v[39:40], s[6:7], s8, v41, 0
	v_addc_co_u32_e32 v25, vcc, v43, v25, vcc
	v_add_co_u32_e32 v26, vcc, v42, v26
	v_lshlrev_b64 v[28:29], 2, v[29:30]
	v_addc_co_u32_e32 v27, vcc, v43, v27, vcc
	v_add_co_u32_e32 v28, vcc, v42, v28
	v_lshlrev_b64 v[30:31], 2, v[31:32]
	v_mov_b32_e32 v11, v40
	v_addc_co_u32_e32 v29, vcc, v43, v29, vcc
	v_mad_u64_u32 v[40:41], s[6:7], s9, v41, v[11:12]
	v_add_co_u32_e32 v30, vcc, v42, v30
	v_lshlrev_b64 v[32:33], 2, v[33:34]
	v_addc_co_u32_e32 v31, vcc, v43, v31, vcc
	v_add_co_u32_e32 v32, vcc, v42, v32
	v_lshlrev_b64 v[34:35], 2, v[35:36]
	v_add_u32_e32 v11, 0x110, v12
	v_addc_co_u32_e32 v33, vcc, v43, v33, vcc
	v_lshlrev_b64 v[36:37], 2, v[37:38]
	v_lshlrev_b64 v[38:39], 2, v[39:40]
	v_mad_u64_u32 v[40:41], s[6:7], s8, v11, 0
	v_add_co_u32_e32 v34, vcc, v42, v34
	v_addc_co_u32_e32 v35, vcc, v43, v35, vcc
	v_add_co_u32_e32 v36, vcc, v42, v36
	v_addc_co_u32_e32 v37, vcc, v43, v37, vcc
	global_load_dword v44, v[1:2], off
	global_load_dword v45, v[3:4], off
	;; [unrolled: 1-line block ×8, first 2 shown]
	v_mov_b32_e32 v1, v41
	v_add_co_u32_e32 v38, vcc, v42, v38
	v_mad_u64_u32 v[1:2], s[6:7], s9, v11, v[1:2]
	v_addc_co_u32_e32 v39, vcc, v43, v39, vcc
	global_load_dword v3, v[24:25], off
	global_load_dword v4, v[26:27], off
	;; [unrolled: 1-line block ×8, first 2 shown]
	v_mov_b32_e32 v41, v1
	v_lshlrev_b64 v[1:2], 2, v[40:41]
	v_add_co_u32_e32 v1, vcc, v42, v1
	v_addc_co_u32_e32 v2, vcc, v43, v2, vcc
	global_load_dword v1, v[1:2], off
	v_mul_u32_u24_e32 v2, 0x484, v16
	v_add3_u32 v2, 0, v2, v17
	s_waitcnt vmcnt(15)
	ds_write2_b32 v2, v44, v45 offset1:17
	s_waitcnt vmcnt(13)
	ds_write2_b32 v2, v46, v47 offset0:34 offset1:51
	s_waitcnt vmcnt(11)
	ds_write2_b32 v2, v48, v49 offset0:68 offset1:85
	s_waitcnt vmcnt(9)
	ds_write2_b32 v2, v50, v51 offset0:102 offset1:119
	s_waitcnt vmcnt(7)
	ds_write2_b32 v2, v3, v4 offset0:136 offset1:153
	s_waitcnt vmcnt(5)
	ds_write2_b32 v2, v5, v6 offset0:170 offset1:187
	s_waitcnt vmcnt(3)
	ds_write2_b32 v2, v7, v8 offset0:204 offset1:221
	s_waitcnt vmcnt(1)
	ds_write2_b32 v2, v9, v10 offset0:238 offset1:255
	s_waitcnt vmcnt(0)
	ds_write_b32 v2, v1 offset:1088
.LBB0_14:
	s_or_b64 exec, exec, s[4:5]
	s_movk_i32 s4, 0xf10
	v_mul_u32_u24_sdwa v1, v0, s4 dst_sel:DWORD dst_unused:UNUSED_PAD src0_sel:WORD_0 src1_sel:DWORD
	s_add_u32 s4, 0, 0x92481000
	s_addc_u32 s5, 0, 0x64
	s_add_i32 s5, s5, 0x249248c0
	s_mul_hi_u32 s15, s4, -7
	s_sub_i32 s15, s15, s4
	s_mul_i32 s20, s5, -7
	s_mul_i32 s6, s4, -7
	s_add_i32 s15, s15, s20
	s_mul_hi_u32 s7, s5, s6
	s_mul_i32 s14, s5, s6
	s_mul_i32 s21, s4, s15
	s_mul_hi_u32 s6, s4, s6
	s_mul_hi_u32 s20, s4, s15
	s_add_u32 s6, s6, s21
	s_addc_u32 s20, 0, s20
	s_add_u32 s6, s6, s14
	s_mul_hi_u32 s21, s5, s15
	s_addc_u32 s6, s20, s7
	v_lshrrev_b32_e32 v5, 16, v1
	s_addc_u32 s7, s21, 0
	s_mul_i32 s14, s5, s15
	v_mov_b32_e32 v1, s33
	v_add_co_u32_e32 v19, vcc, s38, v5
	s_add_u32 s6, s6, s14
	v_addc_co_u32_e32 v6, vcc, 0, v1, vcc
	v_mov_b32_e32 v1, s6
	s_addc_u32 s7, 0, s7
	v_add_co_u32_e32 v3, vcc, s4, v1
	s_cmp_lg_u64 vcc, 0
	s_addc_u32 s6, s5, s7
	v_mad_u64_u32 v[1:2], s[4:5], v19, s6, 0
	v_mul_hi_u32 v4, v19, v3
	s_waitcnt lgkmcnt(0)
	s_barrier
	v_add_co_u32_e32 v7, vcc, v4, v1
	v_addc_co_u32_e32 v8, vcc, 0, v2, vcc
	v_mad_u64_u32 v[1:2], s[4:5], v6, v3, 0
	v_mad_u64_u32 v[3:4], s[4:5], v6, s6, 0
	v_add_co_u32_e32 v1, vcc, v7, v1
	v_addc_co_u32_e32 v1, vcc, v8, v2, vcc
	v_addc_co_u32_e32 v2, vcc, 0, v4, vcc
	v_add_co_u32_e32 v1, vcc, v1, v3
	v_addc_co_u32_e32 v3, vcc, 0, v2, vcc
	v_mad_u64_u32 v[1:2], s[4:5], v1, 7, 0
	s_mov_b32 s31, 0xb5c8
	s_movk_i32 s33, 0x3b76
	v_mad_u64_u32 v[2:3], s[4:5], v3, 7, v[2:3]
	v_sub_co_u32_e32 v1, vcc, v19, v1
	v_subb_co_u32_e32 v2, vcc, v6, v2, vcc
	v_subrev_co_u32_e32 v3, vcc, 7, v1
	v_subbrev_co_u32_e32 v4, vcc, 0, v2, vcc
	v_cmp_lt_u32_e32 vcc, 6, v3
	v_cndmask_b32_e64 v6, 0, -1, vcc
	v_cmp_eq_u32_e32 vcc, 0, v4
	v_cndmask_b32_e32 v4, -1, v6, vcc
	v_add_u32_e32 v6, -7, v3
	v_cmp_ne_u32_e32 vcc, 0, v4
	v_cndmask_b32_e32 v3, v3, v6, vcc
	v_cmp_lt_u32_e32 vcc, 6, v1
	v_cndmask_b32_e64 v4, 0, -1, vcc
	v_cmp_eq_u32_e32 vcc, 0, v2
	v_cndmask_b32_e32 v2, -1, v4, vcc
	v_cmp_ne_u32_e32 vcc, 0, v2
	v_cndmask_b32_e32 v1, v1, v3, vcc
	v_mul_lo_u16_e32 v2, 17, v5
	v_mul_u32_u24_e32 v1, 0x121, v1
	v_sub_u16_e32 v20, v0, v2
	v_lshlrev_b32_e32 v0, 2, v1
	v_lshlrev_b32_e32 v2, 2, v20
	v_add_u32_e32 v1, 0, v0
	v_add3_u32 v18, 0, v2, v0
	s_movk_i32 s4, 0x44
	v_add_u32_e32 v21, v1, v2
	ds_read2_b32 v[29:30], v18 offset0:17 offset1:34
	v_mad_u32_u24 v23, v20, s4, v1
	ds_read2_b32 v[0:1], v18 offset0:119 offset1:136
	ds_read2_b32 v[2:3], v18 offset0:153 offset1:170
	ds_read2_b32 v[4:5], v18 offset0:187 offset1:204
	ds_read2_b32 v[8:9], v18 offset0:221 offset1:238
	ds_read_b32 v24, v21
	v_add_u32_e32 v22, 0x200, v18
	ds_read2_b32 v[10:11], v18 offset0:51 offset1:68
	ds_read2_b32 v[31:32], v22 offset0:127 offset1:144
	;; [unrolled: 1-line block ×3, first 2 shown]
	s_mov_b32 s23, 0xb964
	s_movk_i32 s24, 0x39e9
	s_waitcnt lgkmcnt(3)
	v_pk_add_f16 v25, v24, v29
	v_pk_add_f16 v25, v25, v30
	s_waitcnt lgkmcnt(2)
	v_pk_add_f16 v25, v25, v10
	v_pk_add_f16 v25, v25, v11
	;; [unrolled: 3-line block ×3, first 2 shown]
	v_pk_add_f16 v25, v25, v0
	v_pk_add_f16 v25, v25, v1
	v_pk_add_f16 v25, v25, v2
	v_pk_add_f16 v25, v25, v3
	v_pk_add_f16 v25, v25, v4
	v_pk_add_f16 v25, v25, v5
	v_pk_add_f16 v25, v25, v8
	v_pk_add_f16 v25, v25, v9
	v_pk_add_f16 v27, v29, v32 neg_lo:[0,1] neg_hi:[0,1]
	v_pk_add_f16 v25, v25, v31
	v_pk_add_f16 v28, v32, v29
	v_pk_mul_f16 v26, v27, s31 op_sel_hi:[1,0]
	v_pk_add_f16 v41, v25, v32
	v_pk_fma_f16 v25, v28, s33, v26 op_sel:[0,0,1] op_sel_hi:[1,0,0]
	v_pk_fma_f16 v26, v28, s33, v26 op_sel:[0,0,1] op_sel_hi:[1,0,0] neg_lo:[0,0,1] neg_hi:[0,0,1]
	v_bfi_b32 v29, s39, v25, v26
	v_pk_add_f16 v33, v24, v29
	v_mul_f16_sdwa v29, v27, s23 dst_sel:DWORD dst_unused:UNUSED_PAD src0_sel:WORD_1 src1_sel:DWORD
	v_fma_f16 v32, v28, s24, v29
	v_add_f16_e32 v34, v24, v32
	v_mul_f16_sdwa v32, v28, s24 dst_sel:DWORD dst_unused:UNUSED_PAD src0_sel:WORD_1 src1_sel:DWORD
	v_fma_f16 v29, v28, s24, -v29
	v_add_f16_e32 v36, v24, v29
	v_fma_f16 v29, v27, s23, v32
	s_mov_b32 s14, 0xbb29
	s_movk_i32 s25, 0x3964
	v_add_f16_sdwa v37, v24, v29 dst_sel:DWORD dst_unused:UNUSED_PAD src0_sel:WORD_1 src1_sel:DWORD
	v_mul_f16_sdwa v29, v27, s14 dst_sel:DWORD dst_unused:UNUSED_PAD src0_sel:WORD_1 src1_sel:DWORD
	s_movk_i32 s15, 0x3722
	v_fma_f16 v35, v27, s25, v32
	v_fma_f16 v32, v28, s15, v29
	v_add_f16_e32 v38, v24, v32
	v_mul_f16_sdwa v32, v28, s15 dst_sel:DWORD dst_unused:UNUSED_PAD src0_sel:WORD_1 src1_sel:DWORD
	v_fma_f16 v29, v28, s15, -v29
	v_add_f16_e32 v40, v24, v29
	v_fma_f16 v29, v27, s14, v32
	s_mov_b32 s6, 0xbbf7
	s_movk_i32 s7, 0x3b29
	v_add_f16_sdwa v42, v24, v29 dst_sel:DWORD dst_unused:UNUSED_PAD src0_sel:WORD_1 src1_sel:DWORD
	v_mul_f16_sdwa v29, v27, s6 dst_sel:DWORD dst_unused:UNUSED_PAD src0_sel:WORD_1 src1_sel:DWORD
	s_movk_i32 s4, 0x2de8
	v_fma_f16 v39, v27, s7, v32
	v_fma_f16 v32, v28, s4, v29
	v_add_f16_e32 v43, v24, v32
	v_mul_f16_sdwa v32, v28, s4 dst_sel:DWORD dst_unused:UNUSED_PAD src0_sel:WORD_1 src1_sel:DWORD
	v_fma_f16 v29, v28, s4, -v29
	v_add_f16_e32 v45, v24, v29
	v_fma_f16 v29, v27, s6, v32
	s_mov_b32 s20, 0xbbb2
	s_movk_i32 s5, 0x3bf7
	v_add_f16_sdwa v46, v24, v29 dst_sel:DWORD dst_unused:UNUSED_PAD src0_sel:WORD_1 src1_sel:DWORD
	v_mul_f16_sdwa v29, v27, s20 dst_sel:DWORD dst_unused:UNUSED_PAD src0_sel:WORD_1 src1_sel:DWORD
	s_mov_b32 s21, 0xb461
	v_fma_f16 v44, v27, s5, v32
	v_fma_f16 v32, v28, s21, v29
	v_add_f16_e32 v47, v24, v32
	v_mul_f16_sdwa v32, v28, s21 dst_sel:DWORD dst_unused:UNUSED_PAD src0_sel:WORD_1 src1_sel:DWORD
	v_fma_f16 v29, v28, s21, -v29
	v_add_f16_e32 v49, v24, v29
	v_fma_f16 v29, v27, s20, v32
	s_mov_b32 s26, 0xba62
	s_movk_i32 s22, 0x3bb2
	v_add_f16_sdwa v50, v24, v29 dst_sel:DWORD dst_unused:UNUSED_PAD src0_sel:WORD_1 src1_sel:DWORD
	v_mul_f16_sdwa v29, v27, s26 dst_sel:DWORD dst_unused:UNUSED_PAD src0_sel:WORD_1 src1_sel:DWORD
	s_mov_b32 s27, 0xb8d2
	;; [unrolled: 12-line block ×3, first 2 shown]
	v_fma_f16 v52, v27, s28, v32
	v_fma_f16 v32, v28, s30, v29
	v_add_f16_e32 v55, v24, v32
	v_mul_f16_sdwa v32, v28, s30 dst_sel:DWORD dst_unused:UNUSED_PAD src0_sel:WORD_1 src1_sel:DWORD
	s_movk_i32 s34, 0x3836
	v_fma_f16 v29, v28, s30, -v29
	v_fma_f16 v56, v27, s34, v32
	v_add_f16_e32 v57, v24, v29
	v_fma_f16 v29, v27, s29, v32
	v_pk_add_f16 v32, v31, v30
	v_pk_add_f16 v31, v30, v31 neg_lo:[0,1] neg_hi:[0,1]
	v_pk_mul_f16 v30, v31, s23 op_sel_hi:[1,0]
	v_add_f16_sdwa v58, v24, v29 dst_sel:DWORD dst_unused:UNUSED_PAD src0_sel:WORD_1 src1_sel:DWORD
	v_pk_fma_f16 v29, v32, s24, v30 op_sel:[0,0,1] op_sel_hi:[1,0,0]
	v_pk_fma_f16 v30, v32, s24, v30 op_sel:[0,0,1] op_sel_hi:[1,0,0] neg_lo:[0,0,1] neg_hi:[0,0,1]
	v_bfi_b32 v59, s39, v29, v30
	v_pk_add_f16 v59, v59, v33
	v_mul_f16_sdwa v33, v31, s6 dst_sel:DWORD dst_unused:UNUSED_PAD src0_sel:WORD_1 src1_sel:DWORD
	v_fma_f16 v60, v32, s4, v33
	v_add_f16_e32 v60, v60, v34
	v_mul_f16_sdwa v34, v32, s4 dst_sel:DWORD dst_unused:UNUSED_PAD src0_sel:WORD_1 src1_sel:DWORD
	v_fma_f16 v33, v32, s4, -v33
	v_add_f16_e32 v36, v33, v36
	v_fma_f16 v33, v31, s6, v34
	v_add_f16_e32 v37, v33, v37
	v_mul_f16_sdwa v33, v31, s26 dst_sel:DWORD dst_unused:UNUSED_PAD src0_sel:WORD_1 src1_sel:DWORD
	v_fma_f16 v61, v31, s5, v34
	v_fma_f16 v34, v32, s27, v33
	v_add_f16_e32 v38, v34, v38
	v_mul_f16_sdwa v34, v32, s27 dst_sel:DWORD dst_unused:UNUSED_PAD src0_sel:WORD_1 src1_sel:DWORD
	v_fma_f16 v33, v32, s27, -v33
	v_add_f16_e32 v40, v33, v40
	v_fma_f16 v33, v31, s26, v34
	s_mov_b32 s35, 0xb1e1
	v_add_f16_sdwa v35, v24, v35 dst_sel:DWORD dst_unused:UNUSED_PAD src0_sel:WORD_1 src1_sel:DWORD
	v_add_f16_e32 v42, v33, v42
	v_mul_f16_sdwa v33, v31, s35 dst_sel:DWORD dst_unused:UNUSED_PAD src0_sel:WORD_1 src1_sel:DWORD
	s_mov_b32 s36, 0xbbdd
	v_add_f16_e32 v35, v61, v35
	v_fma_f16 v61, v31, s28, v34
	v_fma_f16 v34, v32, s36, v33
	v_add_f16_e32 v43, v34, v43
	v_mul_f16_sdwa v34, v32, s36 dst_sel:DWORD dst_unused:UNUSED_PAD src0_sel:WORD_1 src1_sel:DWORD
	v_fma_f16 v33, v32, s36, -v33
	v_add_f16_e32 v45, v33, v45
	v_fma_f16 v33, v31, s35, v34
	v_add_f16_sdwa v39, v24, v39 dst_sel:DWORD dst_unused:UNUSED_PAD src0_sel:WORD_1 src1_sel:DWORD
	s_movk_i32 s37, 0x31e1
	v_add_f16_e32 v46, v33, v46
	v_mul_f16_sdwa v33, v31, s34 dst_sel:DWORD dst_unused:UNUSED_PAD src0_sel:WORD_1 src1_sel:DWORD
	v_add_f16_e32 v39, v61, v39
	v_fma_f16 v61, v31, s37, v34
	v_fma_f16 v34, v32, s30, v33
	v_add_f16_e32 v47, v34, v47
	v_mul_f16_sdwa v34, v32, s30 dst_sel:DWORD dst_unused:UNUSED_PAD src0_sel:WORD_1 src1_sel:DWORD
	v_fma_f16 v33, v32, s30, -v33
	v_add_f16_e32 v49, v33, v49
	v_fma_f16 v33, v31, s34, v34
	v_add_f16_sdwa v44, v24, v44 dst_sel:DWORD dst_unused:UNUSED_PAD src0_sel:WORD_1 src1_sel:DWORD
	v_add_f16_e32 v50, v33, v50
	v_mul_f16_sdwa v33, v31, s22 dst_sel:DWORD dst_unused:UNUSED_PAD src0_sel:WORD_1 src1_sel:DWORD
	v_add_f16_e32 v44, v61, v44
	v_fma_f16 v61, v31, s29, v34
	v_fma_f16 v34, v32, s21, v33
	v_add_f16_e32 v51, v34, v51
	v_mul_f16_sdwa v34, v32, s21 dst_sel:DWORD dst_unused:UNUSED_PAD src0_sel:WORD_1 src1_sel:DWORD
	v_fma_f16 v33, v32, s21, -v33
	v_add_f16_e32 v53, v33, v53
	v_fma_f16 v33, v31, s22, v34
	v_add_f16_sdwa v48, v24, v48 dst_sel:DWORD dst_unused:UNUSED_PAD src0_sel:WORD_1 src1_sel:DWORD
	;; [unrolled: 11-line block ×3, first 2 shown]
	v_add_f16_e32 v58, v33, v58
	v_pk_add_f16 v33, v10, v9 neg_lo:[0,1] neg_hi:[0,1]
	v_add_f16_e32 v52, v61, v52
	v_fma_f16 v61, v31, s14, v34
	v_pk_add_f16 v34, v9, v10
	v_pk_mul_f16 v10, v33, s14 op_sel_hi:[1,0]
	v_add_f16_sdwa v56, v24, v56 dst_sel:DWORD dst_unused:UNUSED_PAD src0_sel:WORD_1 src1_sel:DWORD
	v_pk_fma_f16 v9, v34, s15, v10 op_sel:[0,0,1] op_sel_hi:[1,0,0]
	v_pk_fma_f16 v10, v34, s15, v10 op_sel:[0,0,1] op_sel_hi:[1,0,0] neg_lo:[0,0,1] neg_hi:[0,0,1]
	v_add_f16_e32 v56, v61, v56
	v_bfi_b32 v61, s39, v9, v10
	v_pk_add_f16 v59, v61, v59
	v_mul_f16_sdwa v61, v33, s26 dst_sel:DWORD dst_unused:UNUSED_PAD src0_sel:WORD_1 src1_sel:DWORD
	v_fma_f16 v62, v34, s27, v61
	v_add_f16_e32 v60, v62, v60
	v_mul_f16_sdwa v62, v34, s27 dst_sel:DWORD dst_unused:UNUSED_PAD src0_sel:WORD_1 src1_sel:DWORD
	v_fma_f16 v63, v33, s28, v62
	v_add_f16_e32 v63, v63, v35
	v_fma_f16 v35, v34, s27, -v61
	v_add_f16_e32 v61, v35, v36
	v_fma_f16 v35, v33, s26, v62
	v_add_f16_e32 v37, v35, v37
	v_mul_f16_sdwa v35, v33, s37 dst_sel:DWORD dst_unused:UNUSED_PAD src0_sel:WORD_1 src1_sel:DWORD
	v_fma_f16 v36, v34, s36, v35
	v_add_f16_e32 v38, v36, v38
	v_mul_f16_sdwa v36, v34, s36 dst_sel:DWORD dst_unused:UNUSED_PAD src0_sel:WORD_1 src1_sel:DWORD
	v_fma_f16 v35, v34, s36, -v35
	v_add_f16_e32 v40, v35, v40
	v_fma_f16 v35, v33, s37, v36
	v_add_f16_e32 v42, v35, v42
	v_mul_f16_sdwa v35, v33, s22 dst_sel:DWORD dst_unused:UNUSED_PAD src0_sel:WORD_1 src1_sel:DWORD
	v_fma_f16 v62, v33, s35, v36
	v_fma_f16 v36, v34, s21, v35
	v_add_f16_e32 v43, v36, v43
	v_mul_f16_sdwa v36, v34, s21 dst_sel:DWORD dst_unused:UNUSED_PAD src0_sel:WORD_1 src1_sel:DWORD
	v_fma_f16 v35, v34, s21, -v35
	v_add_f16_e32 v45, v35, v45
	v_fma_f16 v35, v33, s22, v36
	v_add_f16_e32 v46, v35, v46
	v_mul_f16_sdwa v35, v33, s25 dst_sel:DWORD dst_unused:UNUSED_PAD src0_sel:WORD_1 src1_sel:DWORD
	v_add_f16_e32 v39, v62, v39
	v_fma_f16 v62, v33, s20, v36
	v_fma_f16 v36, v34, s24, v35
	v_add_f16_e32 v47, v36, v47
	v_mul_f16_sdwa v36, v34, s24 dst_sel:DWORD dst_unused:UNUSED_PAD src0_sel:WORD_1 src1_sel:DWORD
	v_fma_f16 v35, v34, s24, -v35
	v_add_f16_e32 v49, v35, v49
	v_fma_f16 v35, v33, s25, v36
	v_add_f16_e32 v50, v35, v50
	v_mul_f16_sdwa v35, v33, s31 dst_sel:DWORD dst_unused:UNUSED_PAD src0_sel:WORD_1 src1_sel:DWORD
	v_add_f16_e32 v44, v62, v44
	v_fma_f16 v62, v33, s23, v36
	v_fma_f16 v36, v34, s33, v35
	v_add_f16_e32 v51, v36, v51
	v_mul_f16_sdwa v36, v34, s33 dst_sel:DWORD dst_unused:UNUSED_PAD src0_sel:WORD_1 src1_sel:DWORD
	v_fma_f16 v35, v34, s33, -v35
	v_add_f16_e32 v53, v35, v53
	v_fma_f16 v35, v33, s31, v36
	s_movk_i32 s38, 0x35c8
	v_add_f16_e32 v54, v35, v54
	v_mul_f16_sdwa v35, v33, s6 dst_sel:DWORD dst_unused:UNUSED_PAD src0_sel:WORD_1 src1_sel:DWORD
	v_add_f16_e32 v48, v62, v48
	v_fma_f16 v62, v33, s38, v36
	v_fma_f16 v36, v34, s4, v35
	v_add_f16_e32 v55, v36, v55
	v_mul_f16_sdwa v36, v34, s4 dst_sel:DWORD dst_unused:UNUSED_PAD src0_sel:WORD_1 src1_sel:DWORD
	v_fma_f16 v35, v34, s4, -v35
	v_add_f16_e32 v57, v35, v57
	v_fma_f16 v35, v33, s6, v36
	v_add_f16_e32 v58, v35, v58
	v_pk_add_f16 v35, v11, v8 neg_lo:[0,1] neg_hi:[0,1]
	v_add_f16_e32 v52, v62, v52
	v_fma_f16 v62, v33, s5, v36
	v_pk_add_f16 v36, v8, v11
	v_pk_mul_f16 v11, v35, s6 op_sel_hi:[1,0]
	v_pk_fma_f16 v8, v36, s4, v11 op_sel:[0,0,1] op_sel_hi:[1,0,0]
	v_pk_fma_f16 v11, v36, s4, v11 op_sel:[0,0,1] op_sel_hi:[1,0,0] neg_lo:[0,0,1] neg_hi:[0,0,1]
	v_add_f16_e32 v56, v62, v56
	v_bfi_b32 v62, s39, v8, v11
	v_pk_add_f16 v59, v62, v59
	v_mul_f16_sdwa v62, v35, s35 dst_sel:DWORD dst_unused:UNUSED_PAD src0_sel:WORD_1 src1_sel:DWORD
	v_fma_f16 v64, v36, s36, v62
	v_add_f16_e32 v60, v64, v60
	v_mul_f16_sdwa v64, v36, s36 dst_sel:DWORD dst_unused:UNUSED_PAD src0_sel:WORD_1 src1_sel:DWORD
	v_fma_f16 v62, v36, s36, -v62
	v_add_f16_e32 v61, v62, v61
	v_fma_f16 v62, v35, s35, v64
	v_add_f16_e32 v62, v62, v37
	v_mul_f16_sdwa v37, v35, s22 dst_sel:DWORD dst_unused:UNUSED_PAD src0_sel:WORD_1 src1_sel:DWORD
	v_fma_f16 v65, v35, s37, v64
	v_fma_f16 v64, v36, s21, v37
	v_add_f16_e32 v64, v64, v38
	v_mul_f16_sdwa v38, v36, s21 dst_sel:DWORD dst_unused:UNUSED_PAD src0_sel:WORD_1 src1_sel:DWORD
	v_fma_f16 v37, v36, s21, -v37
	v_add_f16_e32 v40, v37, v40
	v_fma_f16 v37, v35, s22, v38
	v_add_f16_e32 v42, v37, v42
	v_mul_f16_sdwa v37, v35, s38 dst_sel:DWORD dst_unused:UNUSED_PAD src0_sel:WORD_1 src1_sel:DWORD
	v_add_f16_e32 v63, v65, v63
	v_fma_f16 v65, v35, s20, v38
	v_fma_f16 v38, v36, s33, v37
	v_add_f16_e32 v43, v38, v43
	v_mul_f16_sdwa v38, v36, s33 dst_sel:DWORD dst_unused:UNUSED_PAD src0_sel:WORD_1 src1_sel:DWORD
	v_fma_f16 v37, v36, s33, -v37
	v_add_f16_e32 v45, v37, v45
	v_fma_f16 v37, v35, s38, v38
	v_add_f16_e32 v46, v37, v46
	v_mul_f16_sdwa v37, v35, s14 dst_sel:DWORD dst_unused:UNUSED_PAD src0_sel:WORD_1 src1_sel:DWORD
	v_add_f16_e32 v39, v65, v39
	;; [unrolled: 10-line block ×4, first 2 shown]
	v_fma_f16 v65, v35, s34, v38
	v_fma_f16 v38, v36, s27, v37
	v_add_f16_e32 v55, v38, v55
	v_mul_f16_sdwa v38, v36, s27 dst_sel:DWORD dst_unused:UNUSED_PAD src0_sel:WORD_1 src1_sel:DWORD
	v_fma_f16 v37, v36, s27, -v37
	v_add_f16_e32 v57, v37, v57
	v_fma_f16 v37, v35, s28, v38
	v_add_f16_e32 v58, v37, v58
	v_pk_add_f16 v37, v6, v5 neg_lo:[0,1] neg_hi:[0,1]
	v_add_f16_e32 v52, v65, v52
	v_fma_f16 v65, v35, s26, v38
	v_pk_add_f16 v38, v5, v6
	v_pk_mul_f16 v6, v37, s20 op_sel_hi:[1,0]
	v_pk_fma_f16 v5, v38, s21, v6 op_sel:[0,0,1] op_sel_hi:[1,0,0]
	v_pk_fma_f16 v6, v38, s21, v6 op_sel:[0,0,1] op_sel_hi:[1,0,0] neg_lo:[0,0,1] neg_hi:[0,0,1]
	v_add_f16_e32 v56, v65, v56
	v_bfi_b32 v65, s39, v5, v6
	v_pk_add_f16 v59, v65, v59
	v_mul_f16_sdwa v65, v37, s34 dst_sel:DWORD dst_unused:UNUSED_PAD src0_sel:WORD_1 src1_sel:DWORD
	v_fma_f16 v66, v38, s30, v65
	v_add_f16_e32 v60, v66, v60
	v_mul_f16_sdwa v66, v38, s30 dst_sel:DWORD dst_unused:UNUSED_PAD src0_sel:WORD_1 src1_sel:DWORD
	v_fma_f16 v65, v38, s30, -v65
	v_add_f16_e32 v61, v65, v61
	v_fma_f16 v65, v37, s34, v66
	v_add_f16_e32 v62, v65, v62
	v_mul_f16_sdwa v65, v37, s25 dst_sel:DWORD dst_unused:UNUSED_PAD src0_sel:WORD_1 src1_sel:DWORD
	v_fma_f16 v67, v37, s29, v66
	v_fma_f16 v66, v38, s24, v65
	v_add_f16_e32 v64, v66, v64
	v_mul_f16_sdwa v66, v38, s24 dst_sel:DWORD dst_unused:UNUSED_PAD src0_sel:WORD_1 src1_sel:DWORD
	v_add_f16_e32 v63, v67, v63
	v_fma_f16 v67, v37, s23, v66
	v_add_f16_e32 v67, v67, v39
	v_fma_f16 v39, v38, s24, -v65
	v_add_f16_e32 v65, v39, v40
	v_fma_f16 v39, v37, s25, v66
	v_add_f16_e32 v42, v39, v42
	v_mul_f16_sdwa v39, v37, s14 dst_sel:DWORD dst_unused:UNUSED_PAD src0_sel:WORD_1 src1_sel:DWORD
	v_fma_f16 v40, v38, s15, v39
	v_add_f16_e32 v43, v40, v43
	v_mul_f16_sdwa v40, v38, s15 dst_sel:DWORD dst_unused:UNUSED_PAD src0_sel:WORD_1 src1_sel:DWORD
	v_fma_f16 v39, v38, s15, -v39
	v_add_f16_e32 v45, v39, v45
	v_fma_f16 v39, v37, s14, v40
	v_add_f16_e32 v46, v39, v46
	v_mul_f16_sdwa v39, v37, s35 dst_sel:DWORD dst_unused:UNUSED_PAD src0_sel:WORD_1 src1_sel:DWORD
	v_fma_f16 v66, v37, s7, v40
	v_fma_f16 v40, v38, s36, v39
	v_add_f16_e32 v47, v40, v47
	v_mul_f16_sdwa v40, v38, s36 dst_sel:DWORD dst_unused:UNUSED_PAD src0_sel:WORD_1 src1_sel:DWORD
	v_fma_f16 v39, v38, s36, -v39
	v_add_f16_e32 v49, v39, v49
	v_fma_f16 v39, v37, s35, v40
	v_add_f16_e32 v50, v39, v50
	v_mul_f16_sdwa v39, v37, s5 dst_sel:DWORD dst_unused:UNUSED_PAD src0_sel:WORD_1 src1_sel:DWORD
	v_add_f16_e32 v44, v66, v44
	v_fma_f16 v66, v37, s37, v40
	v_fma_f16 v40, v38, s4, v39
	v_add_f16_e32 v51, v40, v51
	v_mul_f16_sdwa v40, v38, s4 dst_sel:DWORD dst_unused:UNUSED_PAD src0_sel:WORD_1 src1_sel:DWORD
	v_fma_f16 v39, v38, s4, -v39
	v_add_f16_e32 v53, v39, v53
	v_fma_f16 v39, v37, s5, v40
	v_add_f16_e32 v54, v39, v54
	v_mul_f16_sdwa v39, v37, s31 dst_sel:DWORD dst_unused:UNUSED_PAD src0_sel:WORD_1 src1_sel:DWORD
	v_add_f16_e32 v48, v66, v48
	v_fma_f16 v66, v37, s6, v40
	v_fma_f16 v40, v38, s33, v39
	v_add_f16_e32 v55, v40, v55
	v_mul_f16_sdwa v40, v38, s33 dst_sel:DWORD dst_unused:UNUSED_PAD src0_sel:WORD_1 src1_sel:DWORD
	v_fma_f16 v39, v38, s33, -v39
	v_add_f16_e32 v57, v39, v57
	v_fma_f16 v39, v37, s31, v40
	v_add_f16_e32 v58, v39, v58
	v_pk_add_f16 v39, v7, v4 neg_lo:[0,1] neg_hi:[0,1]
	v_add_f16_e32 v52, v66, v52
	v_fma_f16 v66, v37, s38, v40
	v_pk_add_f16 v40, v4, v7
	v_pk_mul_f16 v7, v39, s26 op_sel_hi:[1,0]
	v_pk_fma_f16 v4, v40, s27, v7 op_sel:[0,0,1] op_sel_hi:[1,0,0]
	v_pk_fma_f16 v7, v40, s27, v7 op_sel:[0,0,1] op_sel_hi:[1,0,0] neg_lo:[0,0,1] neg_hi:[0,0,1]
	v_add_f16_e32 v56, v66, v56
	v_bfi_b32 v66, s39, v4, v7
	v_pk_add_f16 v59, v66, v59
	v_mul_f16_sdwa v66, v39, s22 dst_sel:DWORD dst_unused:UNUSED_PAD src0_sel:WORD_1 src1_sel:DWORD
	v_fma_f16 v68, v40, s21, v66
	v_add_f16_e32 v60, v68, v60
	v_mul_f16_sdwa v68, v40, s21 dst_sel:DWORD dst_unused:UNUSED_PAD src0_sel:WORD_1 src1_sel:DWORD
	v_fma_f16 v66, v40, s21, -v66
	v_add_f16_e32 v61, v66, v61
	v_fma_f16 v66, v39, s22, v68
	v_add_f16_e32 v62, v66, v62
	v_mul_f16_sdwa v66, v39, s31 dst_sel:DWORD dst_unused:UNUSED_PAD src0_sel:WORD_1 src1_sel:DWORD
	v_fma_f16 v69, v39, s20, v68
	v_fma_f16 v68, v40, s33, v66
	v_add_f16_e32 v64, v68, v64
	v_mul_f16_sdwa v68, v40, s33 dst_sel:DWORD dst_unused:UNUSED_PAD src0_sel:WORD_1 src1_sel:DWORD
	v_fma_f16 v66, v40, s33, -v66
	v_add_f16_e32 v65, v66, v65
	v_fma_f16 v66, v39, s31, v68
	v_add_f16_e32 v66, v66, v42
	v_mul_f16_sdwa v42, v39, s29 dst_sel:DWORD dst_unused:UNUSED_PAD src0_sel:WORD_1 src1_sel:DWORD
	v_add_f16_e32 v63, v69, v63
	v_fma_f16 v69, v39, s38, v68
	v_fma_f16 v68, v40, s30, v42
	v_add_f16_e32 v68, v68, v43
	v_mul_f16_sdwa v43, v40, s30 dst_sel:DWORD dst_unused:UNUSED_PAD src0_sel:WORD_1 src1_sel:DWORD
	v_fma_f16 v42, v40, s30, -v42
	v_add_f16_e32 v45, v42, v45
	v_fma_f16 v42, v39, s29, v43
	v_add_f16_e32 v46, v42, v46
	v_mul_f16_sdwa v42, v39, s5 dst_sel:DWORD dst_unused:UNUSED_PAD src0_sel:WORD_1 src1_sel:DWORD
	v_add_f16_e32 v67, v69, v67
	;; [unrolled: 10-line block ×4, first 2 shown]
	v_fma_f16 v69, v39, s25, v43
	v_fma_f16 v43, v40, s36, v42
	v_add_f16_e32 v55, v43, v55
	v_mul_f16_sdwa v43, v40, s36 dst_sel:DWORD dst_unused:UNUSED_PAD src0_sel:WORD_1 src1_sel:DWORD
	v_fma_f16 v42, v40, s36, -v42
	v_add_f16_e32 v57, v42, v57
	v_fma_f16 v42, v39, s35, v43
	v_add_f16_e32 v58, v42, v58
	v_pk_add_f16 v42, v0, v3 neg_lo:[0,1] neg_hi:[0,1]
	v_add_f16_e32 v52, v69, v52
	v_fma_f16 v69, v39, s37, v43
	v_pk_add_f16 v43, v3, v0
	v_pk_mul_f16 v3, v42, s29 op_sel_hi:[1,0]
	v_pk_fma_f16 v0, v43, s30, v3 op_sel:[0,0,1] op_sel_hi:[1,0,0]
	v_pk_fma_f16 v3, v43, s30, v3 op_sel:[0,0,1] op_sel_hi:[1,0,0] neg_lo:[0,0,1] neg_hi:[0,0,1]
	v_add_f16_e32 v56, v69, v56
	v_bfi_b32 v69, s39, v0, v3
	v_pk_add_f16 v59, v69, v59
	v_mul_f16_sdwa v69, v42, s7 dst_sel:DWORD dst_unused:UNUSED_PAD src0_sel:WORD_1 src1_sel:DWORD
	v_fma_f16 v70, v43, s15, v69
	v_add_f16_e32 v60, v70, v60
	v_mul_f16_sdwa v70, v43, s15 dst_sel:DWORD dst_unused:UNUSED_PAD src0_sel:WORD_1 src1_sel:DWORD
	v_fma_f16 v69, v43, s15, -v69
	v_add_f16_e32 v61, v69, v61
	v_fma_f16 v69, v42, s7, v70
	v_add_f16_e32 v62, v69, v62
	v_mul_f16_sdwa v69, v42, s6 dst_sel:DWORD dst_unused:UNUSED_PAD src0_sel:WORD_1 src1_sel:DWORD
	v_fma_f16 v71, v42, s14, v70
	v_fma_f16 v70, v43, s4, v69
	v_add_f16_e32 v64, v70, v64
	v_mul_f16_sdwa v70, v43, s4 dst_sel:DWORD dst_unused:UNUSED_PAD src0_sel:WORD_1 src1_sel:DWORD
	v_fma_f16 v69, v43, s4, -v69
	v_add_f16_e32 v65, v69, v65
	v_fma_f16 v69, v42, s6, v70
	v_add_f16_e32 v66, v69, v66
	v_mul_f16_sdwa v69, v42, s28 dst_sel:DWORD dst_unused:UNUSED_PAD src0_sel:WORD_1 src1_sel:DWORD
	v_add_f16_e32 v63, v71, v63
	v_fma_f16 v71, v42, s5, v70
	v_fma_f16 v70, v43, s27, v69
	v_add_f16_e32 v68, v70, v68
	v_mul_f16_sdwa v70, v43, s27 dst_sel:DWORD dst_unused:UNUSED_PAD src0_sel:WORD_1 src1_sel:DWORD
	v_add_f16_e32 v67, v71, v67
	v_fma_f16 v71, v42, s26, v70
	v_add_f16_e32 v71, v71, v44
	v_fma_f16 v44, v43, s27, -v69
	v_add_f16_e32 v69, v44, v45
	v_fma_f16 v44, v42, s28, v70
	v_add_f16_e32 v70, v44, v46
	v_mul_f16_sdwa v44, v42, s31 dst_sel:DWORD dst_unused:UNUSED_PAD src0_sel:WORD_1 src1_sel:DWORD
	v_fma_f16 v45, v43, s33, v44
	v_add_f16_e32 v72, v45, v47
	v_mul_f16_sdwa v45, v43, s33 dst_sel:DWORD dst_unused:UNUSED_PAD src0_sel:WORD_1 src1_sel:DWORD
	v_fma_f16 v44, v43, s33, -v44
	v_add_f16_e32 v74, v44, v49
	v_fma_f16 v44, v42, s31, v45
	v_add_f16_e32 v75, v44, v50
	v_mul_f16_sdwa v44, v42, s35 dst_sel:DWORD dst_unused:UNUSED_PAD src0_sel:WORD_1 src1_sel:DWORD
	v_fma_f16 v46, v42, s38, v45
	v_fma_f16 v45, v43, s36, v44
	v_add_f16_e32 v76, v45, v51
	v_mul_f16_sdwa v45, v43, s36 dst_sel:DWORD dst_unused:UNUSED_PAD src0_sel:WORD_1 src1_sel:DWORD
	v_fma_f16 v44, v43, s36, -v44
	v_add_f16_e32 v78, v44, v53
	v_fma_f16 v44, v42, s35, v45
	v_add_f16_e32 v79, v44, v54
	v_mul_f16_sdwa v44, v42, s25 dst_sel:DWORD dst_unused:UNUSED_PAD src0_sel:WORD_1 src1_sel:DWORD
	v_add_f16_e32 v73, v46, v48
	v_fma_f16 v46, v42, s37, v45
	v_fma_f16 v45, v43, s24, v44
	v_add_f16_e32 v80, v45, v55
	v_mul_f16_sdwa v45, v43, s24 dst_sel:DWORD dst_unused:UNUSED_PAD src0_sel:WORD_1 src1_sel:DWORD
	v_fma_f16 v44, v43, s24, -v44
	v_add_f16_e32 v57, v44, v57
	v_fma_f16 v44, v42, s25, v45
	v_add_f16_e32 v81, v44, v58
	v_pk_add_f16 v44, v1, v2 neg_lo:[0,1] neg_hi:[0,1]
	v_add_f16_e32 v77, v46, v52
	v_fma_f16 v46, v42, s23, v45
	v_pk_add_f16 v45, v2, v1
	v_pk_mul_f16 v2, v44, s35 op_sel_hi:[1,0]
	v_pk_fma_f16 v1, v45, s36, v2 op_sel:[0,0,1] op_sel_hi:[1,0,0]
	v_pk_fma_f16 v2, v45, s36, v2 op_sel:[0,0,1] op_sel_hi:[1,0,0] neg_lo:[0,0,1] neg_hi:[0,0,1]
	v_add_f16_e32 v56, v46, v56
	v_bfi_b32 v46, s39, v1, v2
	v_pk_add_f16 v82, v46, v59
	v_mul_f16_sdwa v46, v44, s38 dst_sel:DWORD dst_unused:UNUSED_PAD src0_sel:WORD_1 src1_sel:DWORD
	v_fma_f16 v47, v45, s33, v46
	v_add_f16_e32 v83, v47, v60
	v_mul_f16_sdwa v47, v45, s33 dst_sel:DWORD dst_unused:UNUSED_PAD src0_sel:WORD_1 src1_sel:DWORD
	v_fma_f16 v48, v44, s31, v47
	v_add_f16_e32 v84, v48, v63
	;; [unrolled: 3-line block ×4, first 2 shown]
	v_mul_f16_sdwa v50, v44, s25 dst_sel:DWORD dst_unused:UNUSED_PAD src0_sel:WORD_1 src1_sel:DWORD
	v_fma_f16 v47, v44, s38, v47
	v_fma_f16 v51, v45, s24, v50
	v_add_f16_e32 v47, v47, v62
	v_add_f16_e32 v62, v51, v68
	v_mul_f16_sdwa v51, v45, s24 dst_sel:DWORD dst_unused:UNUSED_PAD src0_sel:WORD_1 src1_sel:DWORD
	v_fma_f16 v52, v44, s23, v51
	v_add_f16_e32 v63, v52, v71
	v_mul_f16_sdwa v52, v44, s26 dst_sel:DWORD dst_unused:UNUSED_PAD src0_sel:WORD_1 src1_sel:DWORD
	v_fma_f16 v53, v45, s27, v52
	v_add_f16_e32 v64, v53, v72
	v_mul_f16_sdwa v53, v45, s27 dst_sel:DWORD dst_unused:UNUSED_PAD src0_sel:WORD_1 src1_sel:DWORD
	v_fma_f16 v48, v45, s30, -v48
	v_fma_f16 v54, v44, s28, v53
	v_add_f16_e32 v48, v48, v65
	v_add_f16_e32 v65, v54, v73
	v_mul_f16_sdwa v54, v44, s7 dst_sel:DWORD dst_unused:UNUSED_PAD src0_sel:WORD_1 src1_sel:DWORD
	v_fma_f16 v46, v45, s33, -v46
	v_fma_f16 v49, v44, s29, v49
	v_fma_f16 v55, v45, s15, v54
	v_mul_f16_sdwa v68, v45, s21 dst_sel:DWORD dst_unused:UNUSED_PAD src0_sel:WORD_1 src1_sel:DWORD
	v_add_f16_e32 v46, v46, v61
	v_add_f16_e32 v49, v49, v66
	;; [unrolled: 1-line block ×3, first 2 shown]
	v_mul_f16_sdwa v55, v45, s15 dst_sel:DWORD dst_unused:UNUSED_PAD src0_sel:WORD_1 src1_sel:DWORD
	v_mul_f16_sdwa v66, v44, s20 dst_sel:DWORD dst_unused:UNUSED_PAD src0_sel:WORD_1 src1_sel:DWORD
	v_fma_f16 v61, v44, s22, v68
	v_fma_f16 v59, v44, s14, v55
	;; [unrolled: 1-line block ×3, first 2 shown]
	v_add_f16_e32 v61, v61, v56
	v_fma_f16 v56, v45, s21, -v66
	s_barrier
	ds_write2_b32 v23, v41, v82 offset1:1
	v_pack_b32_f16 v41, v85, v67
	v_pack_b32_f16 v66, v83, v84
	v_add_f16_e32 v59, v59, v77
	v_add_f16_e32 v60, v60, v80
	ds_write2_b32 v23, v66, v41 offset0:2 offset1:3
	v_pack_b32_f16 v41, v64, v65
	v_pack_b32_f16 v62, v62, v63
	ds_write2_b32 v23, v62, v41 offset0:4 offset1:5
	v_pack_b32_f16 v41, v60, v61
	v_pack_b32_f16 v58, v58, v59
	v_pk_mul_f16 v28, v28, s36 op_sel_hi:[1,0]
	ds_write2_b32 v23, v58, v41 offset0:6 offset1:7
	v_pk_fma_f16 v41, v27, s35, v28 op_sel:[0,0,1] op_sel_hi:[1,0,0]
	v_pk_fma_f16 v27, v27, s35, v28 op_sel:[0,0,1] op_sel_hi:[1,0,0] neg_lo:[1,0,0] neg_hi:[1,0,0]
	v_alignbit_b32 v28, s0, v24, 16
	v_pk_mul_f16 v32, v32, s33 op_sel_hi:[1,0]
	v_alignbit_b32 v58, s0, v41, 16
	v_pk_add_f16 v27, v24, v27 op_sel:[1,0] op_sel_hi:[0,1]
	v_pk_add_f16 v28, v28, v41
	v_pk_fma_f16 v41, v31, s38, v32 op_sel:[0,0,1] op_sel_hi:[1,0,0]
	v_pk_fma_f16 v31, v31, s38, v32 op_sel:[0,0,1] op_sel_hi:[1,0,0] neg_lo:[1,0,0] neg_hi:[1,0,0]
	v_pk_add_f16 v27, v31, v27
	v_pk_mul_f16 v31, v34, s30 op_sel_hi:[1,0]
	v_pk_fma_f16 v32, v33, s29, v31 op_sel:[0,0,1] op_sel_hi:[1,0,0]
	v_pk_fma_f16 v31, v33, s29, v31 op_sel:[0,0,1] op_sel_hi:[1,0,0] neg_lo:[1,0,0] neg_hi:[1,0,0]
	v_pk_add_f16 v28, v41, v28
	v_pk_add_f16 v27, v31, v27
	v_pk_mul_f16 v31, v36, s24 op_sel_hi:[1,0]
	v_alignbit_b32 v34, s0, v32, 16
	v_pk_add_f16 v28, v32, v28
	v_pk_fma_f16 v32, v35, s25, v31 op_sel:[0,0,1] op_sel_hi:[1,0,0]
	v_pk_fma_f16 v31, v35, s25, v31 op_sel:[0,0,1] op_sel_hi:[1,0,0] neg_lo:[1,0,0] neg_hi:[1,0,0]
	v_pk_add_f16 v58, v24, v58
	v_alignbit_b32 v59, s0, v41, 16
	v_pk_add_f16 v27, v31, v27
	v_pk_mul_f16 v31, v38, s27 op_sel_hi:[1,0]
	v_pk_add_f16 v58, v59, v58
	v_alignbit_b32 v33, s0, v32, 16
	v_pk_add_f16 v28, v32, v28
	v_pk_fma_f16 v32, v37, s26, v31 op_sel:[0,0,1] op_sel_hi:[1,0,0]
	v_pk_fma_f16 v31, v37, s26, v31 op_sel:[0,0,1] op_sel_hi:[1,0,0] neg_lo:[1,0,0] neg_hi:[1,0,0]
	v_pk_add_f16 v34, v34, v58
	v_pk_add_f16 v27, v31, v27
	v_pk_mul_f16 v31, v40, s15 op_sel_hi:[1,0]
	v_pk_add_f16 v33, v33, v34
	v_alignbit_b32 v34, s0, v32, 16
	v_pk_add_f16 v28, v32, v28
	v_pk_fma_f16 v32, v39, s7, v31 op_sel:[0,0,1] op_sel_hi:[1,0,0]
	v_pk_fma_f16 v31, v39, s7, v31 op_sel:[0,0,1] op_sel_hi:[1,0,0] neg_lo:[1,0,0] neg_hi:[1,0,0]
	v_pk_add_f16 v27, v31, v27
	v_pk_mul_f16 v31, v43, s21 op_sel_hi:[1,0]
	v_pk_add_f16 v33, v34, v33
	v_alignbit_b32 v34, s0, v32, 16
	v_pk_add_f16 v28, v32, v28
	v_pk_fma_f16 v32, v42, s20, v31 op_sel:[0,0,1] op_sel_hi:[1,0,0]
	v_pk_fma_f16 v31, v42, s20, v31 op_sel:[0,0,1] op_sel_hi:[1,0,0] neg_lo:[1,0,0] neg_hi:[1,0,0]
	v_bfi_b32 v25, s39, v26, v25
	v_pk_add_f16 v27, v31, v27
	v_pk_mul_f16 v31, v45, s4 op_sel_hi:[1,0]
	v_pk_add_f16 v24, v24, v25
	v_bfi_b32 v25, s39, v30, v29
	v_pk_add_f16 v33, v34, v33
	v_alignbit_b32 v34, s0, v32, 16
	v_pk_add_f16 v28, v32, v28
	v_pk_fma_f16 v32, v44, s5, v31 op_sel:[0,0,1] op_sel_hi:[1,0,0]
	v_pk_add_f16 v24, v25, v24
	v_bfi_b32 v9, s39, v10, v9
	v_pk_add_f16 v33, v34, v33
	v_alignbit_b32 v34, s0, v32, 16
	v_pk_fma_f16 v31, v44, s5, v31 op_sel:[0,0,1] op_sel_hi:[1,0,0] neg_lo:[1,0,0] neg_hi:[1,0,0]
	v_pk_add_f16 v9, v9, v24
	v_bfi_b32 v8, s39, v11, v8
	v_fma_f16 v54, v45, s15, -v54
	v_fma_f16 v55, v44, s7, v55
	v_add_f16_e32 v56, v56, v57
	v_fma_f16 v57, v44, s20, v68
	v_pk_add_f16 v33, v34, v33
	v_pk_add_f16 v27, v31, v27
	;; [unrolled: 1-line block ×4, first 2 shown]
	v_bfi_b32 v5, s39, v6, v5
	v_fma_f16 v50, v45, s24, -v50
	v_fma_f16 v51, v44, s25, v51
	v_fma_f16 v52, v45, s27, -v52
	v_fma_f16 v53, v44, s26, v53
	v_add_f16_e32 v54, v54, v78
	v_add_f16_e32 v55, v55, v79
	;; [unrolled: 1-line block ×3, first 2 shown]
	v_alignbit_b32 v28, v28, v27, 16
	v_pack_b32_f16 v27, v33, v27
	v_pk_add_f16 v5, v5, v8
	v_bfi_b32 v4, s39, v7, v4
	v_add_f16_e32 v50, v50, v69
	v_add_f16_e32 v51, v51, v70
	;; [unrolled: 1-line block ×4, first 2 shown]
	ds_write2_b32 v23, v27, v28 offset0:8 offset1:9
	v_pack_b32_f16 v27, v54, v55
	v_pack_b32_f16 v28, v56, v57
	v_pk_add_f16 v4, v4, v5
	v_bfi_b32 v0, s39, v3, v0
	ds_write2_b32 v23, v28, v27 offset0:10 offset1:11
	v_pack_b32_f16 v27, v50, v51
	v_pack_b32_f16 v28, v52, v53
	v_pk_add_f16 v0, v0, v4
	v_bfi_b32 v1, s39, v2, v1
	ds_write2_b32 v23, v28, v27 offset0:12 offset1:13
	v_pack_b32_f16 v27, v46, v47
	v_pack_b32_f16 v28, v48, v49
	v_pk_add_f16 v0, v1, v0
	v_lshlrev_b32_e32 v8, 6, v20
	ds_write2_b32 v23, v28, v27 offset0:14 offset1:15
	ds_write_b32 v23, v0 offset:64
	s_waitcnt lgkmcnt(0)
	s_barrier
	global_load_dwordx4 v[0:3], v8, s[18:19]
	global_load_dwordx4 v[4:7], v8, s[18:19] offset:16
	global_load_dwordx4 v[31:34], v8, s[18:19] offset:32
	;; [unrolled: 1-line block ×3, first 2 shown]
	ds_read2_b32 v[8:9], v18 offset0:17 offset1:34
	ds_read2_b32 v[10:11], v18 offset0:51 offset1:68
	;; [unrolled: 1-line block ×3, first 2 shown]
	ds_read_b32 v49, v21
	ds_read_u16 v21, v18 offset:206
	ds_read2_b32 v[39:40], v18 offset0:119 offset1:136
	s_waitcnt lgkmcnt(5)
	v_lshrrev_b32_e32 v27, 16, v8
	s_waitcnt lgkmcnt(4)
	v_lshrrev_b32_e32 v23, 16, v11
	ds_read2_b32 v[43:44], v18 offset0:187 offset1:204
	s_waitcnt lgkmcnt(4)
	v_lshrrev_b32_e32 v26, 16, v24
	ds_read2_b32 v[41:42], v18 offset0:153 offset1:170
	ds_read2_b32 v[45:46], v18 offset0:221 offset1:238
	v_lshrrev_b32_e32 v50, 16, v25
	s_waitcnt lgkmcnt(3)
	v_lshrrev_b32_e32 v51, 16, v39
	ds_read2_b32 v[47:48], v22 offset0:127 offset1:144
	s_waitcnt lgkmcnt(3)
	v_lshrrev_b32_e32 v22, 16, v43
	v_lshrrev_b32_e32 v55, 16, v44
	;; [unrolled: 1-line block ×3, first 2 shown]
	s_waitcnt lgkmcnt(2)
	v_lshrrev_b32_e32 v53, 16, v41
	s_waitcnt lgkmcnt(1)
	v_lshrrev_b32_e32 v56, 16, v45
	v_lshrrev_b32_e32 v54, 16, v42
	;; [unrolled: 1-line block ×3, first 2 shown]
	s_waitcnt lgkmcnt(0)
	v_lshrrev_b32_e32 v58, 16, v47
	v_lshrrev_b32_e32 v59, 16, v48
	s_waitcnt vmcnt(3)
	v_mul_f16_sdwa v28, v0, v27 dst_sel:DWORD dst_unused:UNUSED_PAD src0_sel:WORD_1 src1_sel:DWORD
	v_fma_f16 v60, v0, v8, v28
	v_mul_f16_sdwa v8, v0, v8 dst_sel:DWORD dst_unused:UNUSED_PAD src0_sel:WORD_1 src1_sel:DWORD
	v_fma_f16 v61, v0, v27, -v8
	v_lshrrev_b32_e32 v0, 16, v9
	v_mul_f16_sdwa v8, v1, v0 dst_sel:DWORD dst_unused:UNUSED_PAD src0_sel:WORD_1 src1_sel:DWORD
	v_fma_f16 v62, v1, v9, v8
	v_mul_f16_sdwa v8, v1, v9 dst_sel:DWORD dst_unused:UNUSED_PAD src0_sel:WORD_1 src1_sel:DWORD
	v_fma_f16 v63, v1, v0, -v8
	v_mul_f16_sdwa v0, v21, v2 dst_sel:DWORD dst_unused:UNUSED_PAD src0_sel:DWORD src1_sel:WORD_1
	v_fma_f16 v29, v2, v10, v0
	v_mul_f16_sdwa v0, v2, v10 dst_sel:DWORD dst_unused:UNUSED_PAD src0_sel:WORD_1 src1_sel:DWORD
	v_fma_f16 v30, v21, v2, -v0
	v_mul_f16_sdwa v0, v23, v3 dst_sel:DWORD dst_unused:UNUSED_PAD src0_sel:DWORD src1_sel:WORD_1
	v_fma_f16 v27, v11, v3, v0
	v_mul_f16_sdwa v0, v11, v3 dst_sel:DWORD dst_unused:UNUSED_PAD src0_sel:DWORD src1_sel:WORD_1
	v_fma_f16 v28, v23, v3, -v0
	s_waitcnt vmcnt(2)
	v_mul_f16_sdwa v0, v26, v4 dst_sel:DWORD dst_unused:UNUSED_PAD src0_sel:DWORD src1_sel:WORD_1
	v_fma_f16 v23, v24, v4, v0
	v_mul_f16_sdwa v0, v24, v4 dst_sel:DWORD dst_unused:UNUSED_PAD src0_sel:DWORD src1_sel:WORD_1
	v_fma_f16 v24, v26, v4, -v0
	v_mul_f16_sdwa v0, v50, v5 dst_sel:DWORD dst_unused:UNUSED_PAD src0_sel:DWORD src1_sel:WORD_1
	v_fma_f16 v8, v25, v5, v0
	v_mul_f16_sdwa v0, v25, v5 dst_sel:DWORD dst_unused:UNUSED_PAD src0_sel:DWORD src1_sel:WORD_1
	s_waitcnt vmcnt(1)
	v_mul_f16_sdwa v11, v43, v33 dst_sel:DWORD dst_unused:UNUSED_PAD src0_sel:DWORD src1_sel:WORD_1
	v_fma_f16 v9, v50, v5, -v0
	v_mul_f16_sdwa v0, v51, v6 dst_sel:DWORD dst_unused:UNUSED_PAD src0_sel:DWORD src1_sel:WORD_1
	v_mul_f16_sdwa v10, v22, v33 dst_sel:DWORD dst_unused:UNUSED_PAD src0_sel:DWORD src1_sel:WORD_1
	v_fma_f16 v22, v22, v33, -v11
	v_mul_f16_sdwa v11, v55, v34 dst_sel:DWORD dst_unused:UNUSED_PAD src0_sel:DWORD src1_sel:WORD_1
	v_fma_f16 v4, v39, v6, v0
	v_mul_f16_sdwa v0, v39, v6 dst_sel:DWORD dst_unused:UNUSED_PAD src0_sel:DWORD src1_sel:WORD_1
	v_fma_f16 v25, v44, v34, v11
	v_mul_f16_sdwa v11, v44, v34 dst_sel:DWORD dst_unused:UNUSED_PAD src0_sel:DWORD src1_sel:WORD_1
	v_fma_f16 v5, v51, v6, -v0
	v_mul_f16_sdwa v0, v52, v7 dst_sel:DWORD dst_unused:UNUSED_PAD src0_sel:DWORD src1_sel:WORD_1
	v_mul_f16_sdwa v1, v40, v7 dst_sel:DWORD dst_unused:UNUSED_PAD src0_sel:DWORD src1_sel:WORD_1
	;; [unrolled: 1-line block ×4, first 2 shown]
	v_fma_f16 v26, v55, v34, -v11
	s_waitcnt vmcnt(0)
	v_mul_f16_sdwa v11, v56, v35 dst_sel:DWORD dst_unused:UNUSED_PAD src0_sel:DWORD src1_sel:WORD_1
	v_fma_f16 v0, v40, v7, v0
	v_fma_f16 v1, v52, v7, -v1
	v_fma_f16 v2, v41, v31, v2
	v_fma_f16 v3, v53, v31, -v3
	v_mul_f16_sdwa v6, v54, v32 dst_sel:DWORD dst_unused:UNUSED_PAD src0_sel:DWORD src1_sel:WORD_1
	v_mul_f16_sdwa v7, v42, v32 dst_sel:DWORD dst_unused:UNUSED_PAD src0_sel:DWORD src1_sel:WORD_1
	v_fma_f16 v31, v45, v35, v11
	v_mul_f16_sdwa v11, v45, v35 dst_sel:DWORD dst_unused:UNUSED_PAD src0_sel:DWORD src1_sel:WORD_1
	v_fma_f16 v6, v42, v32, v6
	v_fma_f16 v7, v54, v32, -v7
	v_fma_f16 v32, v56, v35, -v11
	v_mul_f16_sdwa v11, v57, v36 dst_sel:DWORD dst_unused:UNUSED_PAD src0_sel:DWORD src1_sel:WORD_1
	v_fma_f16 v10, v43, v33, v10
	v_fma_f16 v33, v46, v36, v11
	v_mul_f16_sdwa v11, v46, v36 dst_sel:DWORD dst_unused:UNUSED_PAD src0_sel:DWORD src1_sel:WORD_1
	v_fma_f16 v34, v57, v36, -v11
	v_mul_f16_sdwa v11, v58, v37 dst_sel:DWORD dst_unused:UNUSED_PAD src0_sel:DWORD src1_sel:WORD_1
	v_fma_f16 v35, v47, v37, v11
	v_mul_f16_sdwa v11, v47, v37 dst_sel:DWORD dst_unused:UNUSED_PAD src0_sel:DWORD src1_sel:WORD_1
	v_fma_f16 v36, v58, v37, -v11
	v_mul_f16_sdwa v11, v59, v38 dst_sel:DWORD dst_unused:UNUSED_PAD src0_sel:DWORD src1_sel:WORD_1
	v_fma_f16 v37, v48, v38, v11
	v_mul_f16_sdwa v11, v48, v38 dst_sel:DWORD dst_unused:UNUSED_PAD src0_sel:DWORD src1_sel:WORD_1
	v_add_f16_sdwa v21, v61, v49 dst_sel:DWORD dst_unused:UNUSED_PAD src0_sel:DWORD src1_sel:WORD_1
	v_fma_f16 v38, v59, v38, -v11
	v_add_f16_e32 v11, v60, v49
	v_add_f16_e32 v21, v21, v63
	;; [unrolled: 1-line block ×31, first 2 shown]
	v_sub_f16_e32 v38, v61, v38
	v_add_f16_e32 v11, v11, v37
	v_add_f16_e32 v39, v60, v37
	v_sub_f16_e32 v37, v60, v37
	v_mul_f16_e32 v41, 0xb5c8, v38
	v_mul_f16_e32 v43, 0x3b76, v40
	;; [unrolled: 1-line block ×16, first 2 shown]
	v_fma_f16 v42, v39, s33, v41
	v_fma_f16 v44, v37, s38, v43
	v_fma_f16 v41, v39, s33, -v41
	v_fma_f16 v43, v37, s31, v43
	v_fma_f16 v46, v39, s24, v45
	v_fma_f16 v48, v37, s25, v47
	v_fma_f16 v45, v39, s24, -v45
	v_fma_f16 v47, v37, s23, v47
	;; [unrolled: 4-line block ×8, first 2 shown]
	v_add_f16_e32 v40, v63, v36
	v_sub_f16_e32 v36, v63, v36
	v_add_f16_e32 v42, v42, v49
	v_add_f16_sdwa v44, v44, v49 dst_sel:DWORD dst_unused:UNUSED_PAD src0_sel:DWORD src1_sel:WORD_1
	v_add_f16_e32 v41, v41, v49
	v_add_f16_sdwa v43, v43, v49 dst_sel:DWORD dst_unused:UNUSED_PAD src0_sel:DWORD src1_sel:WORD_1
	;; [unrolled: 2-line block ×16, first 2 shown]
	v_add_f16_e32 v39, v62, v35
	v_mul_f16_e32 v49, 0xb964, v36
	v_sub_f16_e32 v35, v62, v35
	v_fma_f16 v62, v39, s24, v49
	v_add_f16_e32 v42, v62, v42
	v_mul_f16_e32 v62, 0x39e9, v40
	v_fma_f16 v49, v39, s24, -v49
	v_add_f16_e32 v41, v49, v41
	v_fma_f16 v49, v35, s23, v62
	v_add_f16_e32 v43, v49, v43
	v_mul_f16_e32 v49, 0xbbf7, v36
	v_fma_f16 v63, v35, s25, v62
	v_fma_f16 v62, v39, s4, v49
	v_add_f16_e32 v46, v62, v46
	v_mul_f16_e32 v62, 0x2de8, v40
	v_fma_f16 v49, v39, s4, -v49
	v_add_f16_e32 v45, v49, v45
	v_fma_f16 v49, v35, s6, v62
	v_add_f16_e32 v47, v49, v47
	v_mul_f16_e32 v49, 0xba62, v36
	v_add_f16_e32 v44, v63, v44
	v_fma_f16 v63, v35, s5, v62
	v_fma_f16 v62, v39, s27, v49
	v_add_f16_e32 v51, v62, v51
	v_mul_f16_e32 v62, 0xb8d2, v40
	v_fma_f16 v49, v39, s27, -v49
	v_add_f16_e32 v49, v49, v50
	v_fma_f16 v50, v35, s26, v62
	v_add_f16_e32 v50, v50, v52
	v_mul_f16_e32 v52, 0xb1e1, v36
	v_add_f16_e32 v48, v63, v48
	;; [unrolled: 10-line block ×3, first 2 shown]
	v_fma_f16 v63, v35, s37, v62
	v_fma_f16 v62, v39, s30, v56
	v_add_f16_e32 v59, v62, v59
	v_mul_f16_e32 v62, 0xbacd, v40
	v_fma_f16 v56, v39, s30, -v56
	v_add_f16_e32 v56, v56, v58
	v_fma_f16 v58, v35, s34, v62
	v_add_f16_e32 v57, v63, v57
	v_fma_f16 v63, v35, s29, v62
	v_add_f16_e32 v58, v58, v60
	v_mul_f16_e32 v60, 0x3bb2, v36
	v_add_f16_e32 v61, v63, v61
	v_fma_f16 v62, v39, s21, v60
	v_mul_f16_e32 v63, 0xb461, v40
	v_fma_f16 v60, v39, s21, -v60
	v_add_f16_e32 v62, v62, v65
	v_fma_f16 v65, v35, s20, v63
	v_add_f16_e32 v60, v60, v64
	v_fma_f16 v63, v35, s22, v63
	v_mul_f16_e32 v64, 0x3b29, v36
	v_add_f16_e32 v65, v65, v67
	v_add_f16_e32 v63, v63, v66
	v_fma_f16 v66, v39, s15, v64
	v_mul_f16_e32 v67, 0x3722, v40
	v_fma_f16 v64, v39, s15, -v64
	v_mul_f16_e32 v36, 0x35c8, v36
	v_add_f16_e32 v66, v66, v69
	v_fma_f16 v69, v35, s14, v67
	v_add_f16_e32 v64, v64, v68
	v_fma_f16 v67, v35, s7, v67
	v_fma_f16 v68, v39, s33, v36
	v_mul_f16_e32 v40, 0x3b76, v40
	v_fma_f16 v36, v39, s33, -v36
	v_add_f16_e32 v67, v67, v70
	v_fma_f16 v70, v35, s31, v40
	v_add_f16_e32 v36, v36, v38
	v_fma_f16 v35, v35, s38, v40
	v_add_f16_e32 v38, v30, v34
	v_sub_f16_e32 v30, v30, v34
	v_add_f16_e32 v35, v35, v37
	v_add_f16_e32 v37, v29, v33
	v_sub_f16_e32 v29, v29, v33
	v_mul_f16_e32 v33, 0xbb29, v30
	v_fma_f16 v34, v37, s15, v33
	v_mul_f16_e32 v39, 0x3722, v38
	v_fma_f16 v33, v37, s15, -v33
	v_fma_f16 v40, v29, s7, v39
	v_add_f16_e32 v33, v33, v41
	v_fma_f16 v39, v29, s14, v39
	v_mul_f16_e32 v41, 0xba62, v30
	v_add_f16_e32 v34, v34, v42
	v_add_f16_e32 v39, v39, v43
	v_fma_f16 v42, v37, s27, v41
	v_mul_f16_e32 v43, 0xb8d2, v38
	v_fma_f16 v41, v37, s27, -v41
	v_add_f16_e32 v40, v40, v44
	v_fma_f16 v44, v29, s28, v43
	v_add_f16_e32 v41, v41, v45
	v_fma_f16 v43, v29, s26, v43
	v_mul_f16_e32 v45, 0x31e1, v30
	v_add_f16_e32 v42, v42, v46
	v_add_f16_e32 v43, v43, v47
	v_fma_f16 v46, v37, s36, v45
	v_mul_f16_e32 v47, 0xbbdd, v38
	v_fma_f16 v45, v37, s36, -v45
	v_add_f16_e32 v44, v44, v48
	;; [unrolled: 10-line block ×4, first 2 shown]
	v_fma_f16 v57, v29, s23, v55
	v_add_f16_e32 v52, v52, v56
	v_fma_f16 v55, v29, s25, v55
	v_mul_f16_e32 v56, 0xb5c8, v30
	v_add_f16_e32 v55, v55, v58
	v_fma_f16 v58, v37, s33, v56
	v_fma_f16 v56, v37, s33, -v56
	v_add_f16_e32 v54, v54, v59
	v_mul_f16_e32 v59, 0x3b76, v38
	v_add_f16_e32 v56, v56, v60
	v_mul_f16_e32 v60, 0xbbf7, v30
	v_add_f16_e32 v57, v57, v61
	v_add_f16_e32 v58, v58, v62
	v_fma_f16 v61, v29, s38, v59
	v_fma_f16 v59, v29, s31, v59
	;; [unrolled: 1-line block ×3, first 2 shown]
	v_fma_f16 v60, v37, s4, -v60
	v_mul_f16_e32 v30, 0xb836, v30
	v_add_f16_e32 v59, v59, v63
	v_mul_f16_e32 v63, 0x2de8, v38
	v_add_f16_e32 v60, v60, v64
	v_fma_f16 v64, v37, s30, v30
	v_mul_f16_e32 v38, 0xbacd, v38
	v_fma_f16 v30, v37, s30, -v30
	v_add_f16_e32 v61, v61, v65
	v_add_f16_e32 v62, v62, v66
	v_fma_f16 v65, v29, s5, v63
	v_fma_f16 v63, v29, s6, v63
	;; [unrolled: 1-line block ×3, first 2 shown]
	v_add_f16_e32 v30, v30, v36
	v_fma_f16 v29, v29, s29, v38
	v_add_f16_e32 v36, v28, v32
	v_sub_f16_e32 v28, v28, v32
	v_add_f16_e32 v29, v29, v35
	v_add_f16_e32 v35, v27, v31
	v_sub_f16_e32 v27, v27, v31
	v_mul_f16_e32 v31, 0xbbf7, v28
	v_fma_f16 v32, v35, s4, v31
	v_add_f16_e32 v32, v32, v34
	v_mul_f16_e32 v34, 0x2de8, v36
	v_fma_f16 v31, v35, s4, -v31
	v_fma_f16 v37, v27, s5, v34
	v_add_f16_e32 v31, v31, v33
	v_fma_f16 v33, v27, s6, v34
	v_mul_f16_e32 v34, 0xb1e1, v28
	v_fma_f16 v38, v35, s36, v34
	v_fma_f16 v34, v35, s36, -v34
	v_add_f16_e32 v33, v33, v39
	v_mul_f16_e32 v39, 0xbbdd, v36
	v_add_f16_e32 v34, v34, v41
	v_mul_f16_e32 v41, 0x3bb2, v28
	v_add_f16_e32 v37, v37, v40
	v_add_f16_e32 v38, v38, v42
	v_fma_f16 v40, v27, s37, v39
	v_fma_f16 v39, v27, s35, v39
	v_fma_f16 v42, v35, s21, v41
	v_fma_f16 v41, v35, s21, -v41
	v_add_f16_e32 v39, v39, v43
	v_mul_f16_e32 v43, 0xb461, v36
	v_add_f16_e32 v41, v41, v45
	v_mul_f16_e32 v45, 0x35c8, v28
	v_add_f16_e32 v40, v40, v44
	v_add_f16_e32 v42, v42, v46
	v_fma_f16 v44, v27, s20, v43
	v_fma_f16 v43, v27, s22, v43
	;; [unrolled: 10-line block ×5, first 2 shown]
	v_fma_f16 v58, v35, s27, v56
	v_fma_f16 v56, v35, s27, -v56
	v_mul_f16_e32 v28, 0x3964, v28
	v_add_f16_e32 v55, v55, v59
	v_mul_f16_e32 v59, 0xb8d2, v36
	v_add_f16_e32 v56, v56, v60
	v_fma_f16 v60, v35, s24, v28
	v_mul_f16_e32 v36, 0x39e9, v36
	v_fma_f16 v28, v35, s24, -v28
	v_add_f16_e32 v57, v57, v61
	v_add_f16_e32 v58, v58, v62
	v_fma_f16 v61, v27, s26, v59
	v_fma_f16 v59, v27, s28, v59
	v_fma_f16 v62, v27, s23, v36
	v_add_f16_e32 v28, v28, v30
	v_fma_f16 v27, v27, s25, v36
	v_add_f16_e32 v30, v24, v26
	v_sub_f16_e32 v24, v24, v26
	v_add_f16_e32 v27, v27, v29
	v_add_f16_e32 v29, v23, v25
	v_sub_f16_e32 v23, v23, v25
	v_mul_f16_e32 v25, 0xbbb2, v24
	v_fma_f16 v26, v29, s21, v25
	v_add_f16_e32 v26, v26, v32
	v_mul_f16_e32 v32, 0xb461, v30
	v_fma_f16 v25, v29, s21, -v25
	v_fma_f16 v35, v23, s22, v32
	v_add_f16_e32 v25, v25, v31
	v_fma_f16 v31, v23, s20, v32
	v_mul_f16_e32 v32, 0x3836, v24
	v_add_f16_e32 v31, v31, v33
	v_fma_f16 v33, v29, s30, v32
	v_mul_f16_e32 v36, 0xbacd, v30
	v_fma_f16 v32, v29, s30, -v32
	v_add_f16_e32 v35, v35, v37
	v_fma_f16 v37, v23, s29, v36
	v_add_f16_e32 v32, v32, v34
	v_fma_f16 v34, v23, s34, v36
	v_mul_f16_e32 v36, 0x3964, v24
	v_add_f16_e32 v33, v33, v38
	v_fma_f16 v38, v29, s24, v36
	v_fma_f16 v36, v29, s24, -v36
	v_add_f16_e32 v34, v34, v39
	v_mul_f16_e32 v39, 0x39e9, v30
	v_add_f16_e32 v36, v36, v41
	v_mul_f16_e32 v41, 0xbb29, v24
	v_add_f16_e32 v37, v37, v40
	v_add_f16_e32 v38, v38, v42
	v_fma_f16 v40, v23, s23, v39
	v_fma_f16 v39, v23, s25, v39
	v_fma_f16 v42, v29, s15, v41
	v_fma_f16 v41, v29, s15, -v41
	v_add_f16_e32 v39, v39, v43
	v_mul_f16_e32 v43, 0x3722, v30
	v_add_f16_e32 v41, v41, v45
	v_mul_f16_e32 v45, 0xb1e1, v24
	v_add_f16_e32 v40, v40, v44
	v_add_f16_e32 v42, v42, v46
	v_fma_f16 v44, v23, s7, v43
	v_fma_f16 v43, v23, s14, v43
	;; [unrolled: 10-line block ×4, first 2 shown]
	v_fma_f16 v54, v29, s33, v52
	v_fma_f16 v52, v29, s33, -v52
	v_mul_f16_e32 v24, 0xba62, v24
	v_add_f16_e32 v51, v51, v55
	v_mul_f16_e32 v55, 0x3b76, v30
	v_add_f16_e32 v52, v52, v56
	v_fma_f16 v56, v29, s27, v24
	v_mul_f16_e32 v30, 0xb8d2, v30
	v_fma_f16 v24, v29, s27, -v24
	v_add_f16_e32 v53, v53, v57
	v_add_f16_e32 v54, v54, v58
	v_fma_f16 v57, v23, s38, v55
	v_fma_f16 v55, v23, s31, v55
	;; [unrolled: 1-line block ×3, first 2 shown]
	v_add_f16_e32 v24, v24, v28
	v_fma_f16 v23, v23, s26, v30
	v_add_f16_e32 v28, v9, v22
	v_sub_f16_e32 v9, v9, v22
	v_add_f16_e32 v23, v23, v27
	v_add_f16_e32 v27, v8, v10
	v_sub_f16_e32 v8, v8, v10
	v_mul_f16_e32 v10, 0xba62, v9
	v_fma_f16 v22, v27, s27, v10
	v_add_f16_e32 v22, v22, v26
	v_mul_f16_e32 v26, 0xb8d2, v28
	v_fma_f16 v10, v27, s27, -v10
	v_fma_f16 v29, v8, s28, v26
	v_add_f16_e32 v10, v10, v25
	v_fma_f16 v25, v8, s26, v26
	v_mul_f16_e32 v26, 0x3bb2, v9
	v_add_f16_e32 v25, v25, v31
	v_fma_f16 v30, v27, s21, v26
	v_mul_f16_e32 v31, 0xb461, v28
	v_fma_f16 v26, v27, s21, -v26
	v_add_f16_e32 v29, v29, v35
	v_add_f16_e32 v30, v30, v33
	v_fma_f16 v33, v8, s20, v31
	v_add_f16_e32 v26, v26, v32
	v_fma_f16 v31, v8, s22, v31
	v_mul_f16_e32 v32, 0xb5c8, v9
	v_mul_f16_e32 v35, 0x3b76, v28
	v_add_f16_e32 v33, v33, v37
	v_add_f16_e32 v31, v31, v34
	v_fma_f16 v34, v27, s33, v32
	v_fma_f16 v37, v8, s38, v35
	v_fma_f16 v32, v27, s33, -v32
	v_fma_f16 v35, v8, s31, v35
	v_add_f16_e32 v32, v32, v36
	v_add_f16_e32 v35, v35, v39
	v_mul_f16_e32 v36, 0xb836, v9
	v_mul_f16_e32 v39, 0xbacd, v28
	v_add_f16_e32 v34, v34, v38
	v_add_f16_e32 v37, v37, v40
	v_fma_f16 v38, v27, s30, v36
	v_fma_f16 v40, v8, s34, v39
	v_fma_f16 v36, v27, s30, -v36
	v_fma_f16 v39, v8, s29, v39
	v_add_f16_e32 v36, v36, v41
	v_add_f16_e32 v41, v39, v43
	v_mul_f16_e32 v39, 0x3bf7, v9
	v_add_f16_e32 v38, v38, v42
	v_fma_f16 v42, v27, s4, v39
	v_mul_f16_e32 v43, 0x2de8, v28
	v_fma_f16 v39, v27, s4, -v39
	v_add_f16_e32 v42, v42, v46
	v_add_f16_e32 v46, v39, v45
	v_fma_f16 v39, v8, s5, v43
	v_add_f16_e32 v47, v39, v47
	v_mul_f16_e32 v39, 0xb964, v9
	v_add_f16_e32 v40, v40, v44
	v_fma_f16 v44, v8, s6, v43
	v_fma_f16 v43, v27, s24, v39
	v_add_f16_e32 v44, v44, v48
	v_add_f16_e32 v48, v43, v50
	v_mul_f16_e32 v43, 0x39e9, v28
	v_fma_f16 v39, v27, s24, -v39
	v_add_f16_e32 v49, v39, v49
	v_fma_f16 v39, v8, s23, v43
	v_add_f16_e32 v51, v39, v51
	v_mul_f16_e32 v39, 0xb1e1, v9
	v_add_f16_e32 v68, v68, v72
	v_add_f16_e32 v63, v63, v67
	v_fma_f16 v45, v8, s25, v43
	v_fma_f16 v43, v27, s36, v39
	v_add_f16_e32 v69, v69, v71
	v_add_f16_e32 v70, v70, v73
	;; [unrolled: 1-line block ×6, first 2 shown]
	v_mul_f16_e32 v43, 0xbbdd, v28
	v_fma_f16 v39, v27, s36, -v39
	v_add_f16_e32 v65, v65, v69
	v_add_f16_e32 v66, v66, v70
	v_add_f16_e32 v60, v60, v64
	v_add_f16_e32 v55, v55, v59
	v_add_f16_e32 v52, v39, v52
	v_fma_f16 v39, v8, s35, v43
	v_mul_f16_e32 v9, 0x3b29, v9
	v_add_f16_e32 v61, v61, v65
	v_add_f16_e32 v62, v62, v66
	;; [unrolled: 1-line block ×4, first 2 shown]
	v_fma_f16 v39, v27, s15, v9
	v_mul_f16_e32 v28, 0x3722, v28
	v_sub_f16_e32 v60, v5, v7
	v_add_f16_e32 v57, v57, v61
	v_add_f16_e32 v58, v58, v62
	v_fma_f16 v45, v8, s37, v43
	v_add_f16_e32 v56, v39, v56
	v_fma_f16 v39, v8, s14, v28
	v_fma_f16 v8, v8, s7, v28
	v_add_f16_e32 v28, v4, v6
	v_sub_f16_e32 v59, v4, v6
	v_mul_f16_e32 v4, 0xb836, v60
	v_add_f16_e32 v54, v45, v57
	v_add_f16_e32 v57, v39, v58
	;; [unrolled: 1-line block ×3, first 2 shown]
	v_fma_f16 v5, v28, s30, v4
	v_add_f16_e32 v61, v5, v22
	v_mul_f16_e32 v5, 0xbacd, v58
	v_fma_f16 v4, v28, s30, -v4
	v_add_f16_e32 v63, v4, v10
	v_fma_f16 v4, v59, s29, v5
	v_add_f16_e32 v64, v4, v25
	v_mul_f16_e32 v4, 0x3b29, v60
	v_fma_f16 v6, v59, s34, v5
	v_fma_f16 v5, v28, s15, v4
	v_add_f16_e32 v30, v5, v30
	v_mul_f16_e32 v5, 0x3722, v58
	v_fma_f16 v4, v28, s15, -v4
	v_add_f16_e32 v26, v4, v26
	v_fma_f16 v4, v59, s7, v5
	v_add_f16_e32 v66, v4, v31
	v_mul_f16_e32 v4, 0xbbf7, v60
	v_add_f16_e32 v62, v6, v29
	v_fma_f16 v6, v59, s14, v5
	v_fma_f16 v5, v28, s4, v4
	v_fma_f16 v9, v27, s15, -v9
	v_add_f16_e32 v67, v5, v34
	v_mul_f16_e32 v5, 0x2de8, v58
	v_add_f16_e32 v27, v9, v24
	v_add_f16_e32 v65, v6, v33
	v_fma_f16 v6, v59, s5, v5
	v_mul_f16_e32 v9, 0x3a62, v60
	v_add_f16_e32 v68, v6, v37
	v_fma_f16 v6, v28, s27, v9
	v_mul_f16_e32 v10, 0xb8d2, v58
	v_fma_f16 v9, v28, s27, -v9
	v_add_f16_e32 v39, v9, v36
	v_fma_f16 v9, v59, s28, v10
	v_add_f16_e32 v43, v9, v41
	v_mul_f16_e32 v9, 0xb5c8, v60
	v_fma_f16 v7, v59, s26, v10
	v_fma_f16 v10, v28, s33, v9
	v_add_f16_e32 v45, v10, v42
	v_mul_f16_e32 v10, 0x3b76, v58
	v_fma_f16 v22, v59, s38, v10
	v_add_f16_e32 v41, v22, v44
	v_mul_f16_e32 v22, 0xb1e1, v60
	v_add_f16_e32 v8, v8, v23
	v_fma_f16 v23, v28, s36, v22
	v_add_f16_e32 v42, v23, v48
	v_mul_f16_e32 v23, 0xbbdd, v58
	v_fma_f16 v24, v59, s37, v23
	v_mul_f16_e32 v29, 0x3964, v60
	v_add_f16_e32 v7, v7, v40
	v_add_f16_e32 v44, v24, v50
	v_fma_f16 v24, v28, s24, v29
	v_mul_f16_e32 v31, 0x39e9, v58
	v_fma_f16 v29, v28, s24, -v29
	v_sub_f16_e32 v40, v1, v3
	v_fma_f16 v4, v28, s4, -v4
	v_add_f16_e32 v6, v6, v38
	v_fma_f16 v22, v28, s36, -v22
	v_fma_f16 v25, v59, s23, v31
	v_add_f16_e32 v48, v29, v52
	v_fma_f16 v29, v59, s25, v31
	v_mul_f16_e32 v31, 0xbbb2, v60
	v_add_f16_e32 v37, v0, v2
	v_sub_f16_e32 v38, v0, v2
	v_mul_f16_e32 v0, 0xb1e1, v40
	v_add_f16_e32 v4, v4, v32
	v_fma_f16 v5, v59, s6, v5
	v_fma_f16 v9, v28, s33, -v9
	v_add_f16_e32 v22, v22, v49
	v_add_f16_e32 v49, v29, v55
	v_fma_f16 v29, v28, s21, v31
	v_mul_f16_e32 v32, 0xb461, v58
	v_fma_f16 v28, v28, s21, -v31
	v_add_f16_e32 v36, v1, v3
	v_fma_f16 v1, v37, s36, v0
	v_add_f16_e32 v5, v5, v35
	v_add_f16_e32 v35, v29, v56
	v_fma_f16 v29, v59, s22, v32
	v_add_f16_e32 v34, v28, v27
	v_fma_f16 v27, v59, s20, v32
	v_add_f16_e32 v32, v1, v61
	v_mul_f16_e32 v1, 0xbbdd, v36
	v_fma_f16 v2, v38, s37, v1
	v_add_f16_e32 v33, v2, v62
	v_mul_f16_e32 v2, 0x35c8, v40
	v_fma_f16 v3, v37, s33, v2
	v_fma_f16 v10, v59, s31, v10
	v_add_f16_e32 v30, v3, v30
	v_mul_f16_e32 v3, 0x3b76, v36
	v_add_f16_e32 v10, v10, v47
	v_add_f16_e32 v28, v27, v8
	v_fma_f16 v8, v38, s31, v3
	v_mul_lo_u32 v47, v19, v20
	v_add_f16_e32 v31, v8, v65
	v_fma_f16 v2, v37, s33, -v2
	v_mul_f16_e32 v8, 0xb836, v40
	v_add_f16_e32 v2, v2, v26
	v_fma_f16 v26, v37, s30, v8
	v_fma_f16 v8, v37, s30, -v8
	v_add_f16_e32 v4, v8, v4
	v_mov_b32_e32 v8, 2
	v_fma_f16 v23, v59, s35, v23
	v_lshlrev_b32_sdwa v50, v8, v47 dst_sel:DWORD dst_unused:UNUSED_PAD src0_sel:DWORD src1_sel:BYTE_0
	v_add_f16_e32 v23, v23, v51
	v_add_f16_e32 v29, v29, v57
	v_lshlrev_b32_sdwa v51, v8, v47 dst_sel:DWORD dst_unused:UNUSED_PAD src0_sel:DWORD src1_sel:BYTE_1
	global_load_dword v52, v50, s[12:13]
	global_load_dword v57, v51, s[12:13] offset:1024
	v_lshlrev_b32_sdwa v47, v8, v47 dst_sel:DWORD dst_unused:UNUSED_PAD src0_sel:DWORD src1_sel:BYTE_2
	global_load_dword v58, v47, s[12:13] offset:2048
	v_add_f16_e32 v9, v9, v46
	v_mul_f16_e32 v46, 0xbacd, v36
	v_fma_f16 v27, v38, s34, v46
	v_fma_f16 v46, v38, s29, v46
	v_mul_f16_e32 v50, 0x3964, v40
	v_add_f16_e32 v5, v46, v5
	v_fma_f16 v46, v37, s24, v50
	v_mul_f16_e32 v51, 0x39e9, v36
	v_add_f16_e32 v46, v46, v6
	v_fma_f16 v6, v38, s23, v51
	v_add_f16_e32 v47, v6, v7
	v_fma_f16 v6, v37, s24, -v50
	v_fma_f16 v7, v38, s25, v51
	v_add_u32_e32 v50, 17, v20
	v_add_f16_e32 v7, v7, v43
	v_mul_f16_e32 v43, 0xba62, v40
	v_mul_lo_u32 v50, v19, v50
	v_add_f16_e32 v6, v6, v39
	v_fma_f16 v39, v37, s27, v43
	v_add_f16_e32 v39, v39, v45
	v_mul_f16_e32 v45, 0xb8d2, v36
	v_fma_f16 v51, v38, s28, v45
	v_add_f16_e32 v41, v51, v41
	v_lshlrev_b32_sdwa v51, v8, v50 dst_sel:DWORD dst_unused:UNUSED_PAD src0_sel:DWORD src1_sel:BYTE_0
	v_add_f16_e32 v24, v24, v53
	v_add_f16_e32 v25, v25, v54
	v_fma_f16 v43, v37, s27, -v43
	v_lshlrev_b32_sdwa v53, v8, v50 dst_sel:DWORD dst_unused:UNUSED_PAD src0_sel:DWORD src1_sel:BYTE_1
	global_load_dword v55, v51, s[12:13]
	global_load_dword v54, v53, s[12:13] offset:1024
	v_add_f16_e32 v9, v43, v9
	v_fma_f16 v43, v38, s26, v45
	v_add_f16_e32 v10, v43, v10
	v_lshlrev_b32_sdwa v43, v8, v50 dst_sel:DWORD dst_unused:UNUSED_PAD src0_sel:DWORD src1_sel:BYTE_2
	global_load_dword v53, v43, s[12:13] offset:2048
	v_add_u32_e32 v50, 34, v20
	v_mul_f16_e32 v51, 0x3b29, v40
	v_mul_lo_u32 v56, v19, v50
	v_fma_f16 v43, v37, s15, v51
	v_add_f16_e32 v43, v43, v42
	v_mul_f16_e32 v42, 0x3722, v36
	v_fma_f16 v45, v38, s14, v42
	v_fma_f16 v42, v38, s7, v42
	v_add_f16_e32 v45, v45, v44
	v_fma_f16 v44, v37, s15, -v51
	v_add_f16_e32 v23, v42, v23
	v_lshlrev_b32_sdwa v42, v8, v56 dst_sel:DWORD dst_unused:UNUSED_PAD src0_sel:DWORD src1_sel:BYTE_0
	v_mul_f16_e32 v59, 0xbbb2, v40
	v_add_f16_e32 v22, v44, v22
	v_lshlrev_b32_sdwa v44, v8, v56 dst_sel:DWORD dst_unused:UNUSED_PAD src0_sel:DWORD src1_sel:BYTE_1
	global_load_dword v50, v42, s[12:13]
	global_load_dword v51, v44, s[12:13] offset:1024
	v_fma_f16 v42, v37, s21, v59
	v_mul_f16_e32 v60, 0xb461, v36
	v_add_f16_e32 v42, v42, v24
	v_fma_f16 v24, v38, s22, v60
	v_add_f16_e32 v44, v24, v25
	v_fma_f16 v24, v37, s21, -v59
	v_add_f16_e32 v24, v24, v48
	v_lshlrev_b32_sdwa v48, v8, v56 dst_sel:DWORD dst_unused:UNUSED_PAD src0_sel:DWORD src1_sel:BYTE_2
	global_load_dword v56, v48, s[12:13] offset:2048
	v_fma_f16 v25, v38, s20, v60
	v_add_f16_e32 v25, v25, v49
	v_add_u32_e32 v49, 51, v20
	v_mul_lo_u32 v49, v19, v49
	v_mul_f16_e32 v59, 0x2de8, v36
	v_mul_f16_e32 v48, 0x3bf7, v40
	v_fma_f16 v36, v38, s6, v59
	v_add_f16_e32 v36, v36, v29
	v_fma_f16 v29, v37, s4, -v48
	v_fma_f16 v40, v37, s4, v48
	v_lshlrev_b32_sdwa v60, v8, v49 dst_sel:DWORD dst_unused:UNUSED_PAD src0_sel:DWORD src1_sel:BYTE_0
	v_add_f16_e32 v34, v29, v34
	v_fma_f16 v29, v38, s5, v59
	v_add_f16_e32 v35, v40, v35
	v_lshlrev_b32_sdwa v61, v8, v49 dst_sel:DWORD dst_unused:UNUSED_PAD src0_sel:DWORD src1_sel:BYTE_1
	global_load_dword v62, v60, s[12:13]
	global_load_dword v40, v61, s[12:13] offset:1024
	v_add_f16_e32 v29, v29, v28
	s_waitcnt vmcnt(10)
	v_lshrrev_b32_e32 v28, 16, v52
	v_fma_f16 v0, v37, s36, -v0
	v_fma_f16 v1, v38, s35, v1
	v_fma_f16 v3, v38, s38, v3
	v_lshlrev_b32_sdwa v37, v8, v49 dst_sel:DWORD dst_unused:UNUSED_PAD src0_sel:DWORD src1_sel:BYTE_2
	s_waitcnt vmcnt(9)
	v_mul_f16_sdwa v38, v28, v57 dst_sel:DWORD dst_unused:UNUSED_PAD src0_sel:DWORD src1_sel:WORD_1
	global_load_dword v37, v37, s[12:13] offset:2048
	v_fma_f16 v49, v52, v57, -v38
	v_add_u32_e32 v38, 0x44, v20
	v_mul_lo_u32 v59, v19, v38
	v_mul_f16_sdwa v38, v52, v57 dst_sel:DWORD dst_unused:UNUSED_PAD src0_sel:DWORD src1_sel:WORD_1
	v_fma_f16 v28, v28, v57, v38
	s_waitcnt vmcnt(9)
	v_mul_f16_sdwa v52, v28, v58 dst_sel:DWORD dst_unused:UNUSED_PAD src0_sel:DWORD src1_sel:WORD_1
	v_lshlrev_b32_sdwa v57, v8, v59 dst_sel:DWORD dst_unused:UNUSED_PAD src0_sel:DWORD src1_sel:BYTE_0
	v_lshlrev_b32_sdwa v60, v8, v59 dst_sel:DWORD dst_unused:UNUSED_PAD src0_sel:DWORD src1_sel:BYTE_1
	global_load_dword v48, v57, s[12:13]
	global_load_dword v38, v60, s[12:13] offset:1024
	v_fma_f16 v52, v58, v49, -v52
	v_mul_f16_sdwa v49, v49, v58 dst_sel:DWORD dst_unused:UNUSED_PAD src0_sel:DWORD src1_sel:WORD_1
	v_fma_f16 v57, v58, v28, v49
	v_lshlrev_b32_sdwa v49, v8, v59 dst_sel:DWORD dst_unused:UNUSED_PAD src0_sel:DWORD src1_sel:BYTE_2
	global_load_dword v49, v49, s[12:13] offset:2048
	v_add_u32_e32 v58, 0x55, v20
	v_mul_lo_u32 v58, v19, v58
	v_mul_f16_e32 v28, v21, v57
	v_fma_f16 v28, v11, v52, v28
	v_mul_f16_e32 v11, v11, v57
	v_fma_f16 v11, v21, v52, -v11
	v_lshlrev_b32_sdwa v21, v8, v58 dst_sel:DWORD dst_unused:UNUSED_PAD src0_sel:DWORD src1_sel:BYTE_0
	global_load_dword v52, v21, s[12:13]
	v_lshlrev_b32_sdwa v21, v8, v58 dst_sel:DWORD dst_unused:UNUSED_PAD src0_sel:DWORD src1_sel:BYTE_1
	global_load_dword v57, v21, s[12:13] offset:1024
	v_lshlrev_b32_sdwa v58, v8, v58 dst_sel:DWORD dst_unused:UNUSED_PAD src0_sel:DWORD src1_sel:BYTE_2
	global_load_dword v58, v58, s[12:13] offset:2048
	s_waitcnt vmcnt(14)
	v_lshrrev_b32_e32 v21, 16, v55
	s_waitcnt vmcnt(13)
	v_mul_f16_sdwa v59, v21, v54 dst_sel:DWORD dst_unused:UNUSED_PAD src0_sel:DWORD src1_sel:WORD_1
	v_fma_f16 v59, v55, v54, -v59
	v_mul_f16_sdwa v55, v55, v54 dst_sel:DWORD dst_unused:UNUSED_PAD src0_sel:DWORD src1_sel:WORD_1
	v_fma_f16 v21, v21, v54, v55
	s_waitcnt vmcnt(12)
	v_mul_f16_sdwa v54, v21, v53 dst_sel:DWORD dst_unused:UNUSED_PAD src0_sel:DWORD src1_sel:WORD_1
	v_fma_f16 v54, v53, v59, -v54
	v_mul_f16_sdwa v55, v59, v53 dst_sel:DWORD dst_unused:UNUSED_PAD src0_sel:DWORD src1_sel:WORD_1
	v_add_u32_e32 v59, 0x66, v20
	v_mul_lo_u32 v59, v19, v59
	v_fma_f16 v53, v53, v21, v55
	v_mul_f16_e32 v21, v33, v53
	v_add_f16_e32 v0, v0, v63
	v_lshlrev_b32_sdwa v55, v8, v59 dst_sel:DWORD dst_unused:UNUSED_PAD src0_sel:DWORD src1_sel:BYTE_0
	v_fma_f16 v21, v32, v54, v21
	v_lshlrev_b32_sdwa v60, v8, v59 dst_sel:DWORD dst_unused:UNUSED_PAD src0_sel:DWORD src1_sel:BYTE_1
	global_load_dword v61, v55, s[12:13]
	global_load_dword v63, v60, s[12:13] offset:1024
	v_mul_f16_e32 v32, v32, v53
	v_fma_f16 v32, v33, v54, -v32
	v_lshlrev_b32_sdwa v54, v8, v59 dst_sel:DWORD dst_unused:UNUSED_PAD src0_sel:DWORD src1_sel:BYTE_2
	v_add_u32_e32 v55, 0x77, v20
	global_load_dword v54, v54, s[12:13] offset:2048
	v_mul_lo_u32 v55, v19, v55
	s_waitcnt vmcnt(14)
	v_lshrrev_b32_e32 v33, 16, v50
	s_waitcnt vmcnt(13)
	v_mul_f16_sdwa v53, v33, v51 dst_sel:DWORD dst_unused:UNUSED_PAD src0_sel:DWORD src1_sel:WORD_1
	v_fma_f16 v53, v50, v51, -v53
	v_mul_f16_sdwa v50, v50, v51 dst_sel:DWORD dst_unused:UNUSED_PAD src0_sel:DWORD src1_sel:WORD_1
	v_fma_f16 v33, v33, v51, v50
	v_lshlrev_b32_sdwa v50, v8, v55 dst_sel:DWORD dst_unused:UNUSED_PAD src0_sel:DWORD src1_sel:BYTE_0
	v_lshlrev_b32_sdwa v51, v8, v55 dst_sel:DWORD dst_unused:UNUSED_PAD src0_sel:DWORD src1_sel:BYTE_1
	global_load_dword v59, v50, s[12:13]
	global_load_dword v60, v51, s[12:13] offset:1024
	s_waitcnt vmcnt(14)
	v_mul_f16_sdwa v51, v53, v56 dst_sel:DWORD dst_unused:UNUSED_PAD src0_sel:DWORD src1_sel:WORD_1
	v_mul_f16_sdwa v50, v33, v56 dst_sel:DWORD dst_unused:UNUSED_PAD src0_sel:DWORD src1_sel:WORD_1
	v_fma_f16 v51, v56, v33, v51
	v_fma_f16 v50, v56, v53, -v50
	v_mul_f16_e32 v33, v31, v51
	v_fma_f16 v33, v30, v50, v33
	v_mul_f16_e32 v30, v30, v51
	v_fma_f16 v30, v31, v50, -v30
	v_lshlrev_b32_sdwa v31, v8, v55 dst_sel:DWORD dst_unused:UNUSED_PAD src0_sel:DWORD src1_sel:BYTE_2
	global_load_dword v50, v31, s[12:13] offset:2048
	v_add_u32_e32 v55, 0x88, v20
	v_mul_lo_u32 v55, v19, v55
	v_add_f16_e32 v1, v1, v64
	s_waitcnt vmcnt(14)
	v_lshrrev_b32_e32 v31, 16, v62
	s_waitcnt vmcnt(13)
	v_mul_f16_sdwa v53, v62, v40 dst_sel:DWORD dst_unused:UNUSED_PAD src0_sel:DWORD src1_sel:WORD_1
	v_mul_f16_sdwa v51, v31, v40 dst_sel:DWORD dst_unused:UNUSED_PAD src0_sel:DWORD src1_sel:WORD_1
	v_fma_f16 v31, v31, v40, v53
	v_fma_f16 v51, v62, v40, -v51
	v_lshlrev_b32_sdwa v53, v8, v55 dst_sel:DWORD dst_unused:UNUSED_PAD src0_sel:DWORD src1_sel:BYTE_0
	v_lshlrev_b32_sdwa v56, v8, v55 dst_sel:DWORD dst_unused:UNUSED_PAD src0_sel:DWORD src1_sel:BYTE_1
	global_load_dword v62, v53, s[12:13]
	global_load_dword v64, v56, s[12:13] offset:1024
	v_add_f16_e32 v27, v27, v68
	s_waitcnt vmcnt(14)
	v_mul_f16_sdwa v40, v31, v37 dst_sel:DWORD dst_unused:UNUSED_PAD src0_sel:DWORD src1_sel:WORD_1
	v_fma_f16 v40, v37, v51, -v40
	v_mul_f16_sdwa v51, v51, v37 dst_sel:DWORD dst_unused:UNUSED_PAD src0_sel:DWORD src1_sel:WORD_1
	v_fma_f16 v37, v37, v31, v51
	v_add_f16_e32 v26, v26, v67
	v_mul_f16_e32 v31, v27, v37
	v_fma_f16 v31, v26, v40, v31
	v_mul_f16_e32 v26, v26, v37
	v_fma_f16 v26, v27, v40, -v26
	s_waitcnt vmcnt(13)
	v_lshrrev_b32_e32 v27, 16, v48
	s_waitcnt vmcnt(12)
	v_mul_f16_sdwa v37, v27, v38 dst_sel:DWORD dst_unused:UNUSED_PAD src0_sel:DWORD src1_sel:WORD_1
	v_fma_f16 v37, v48, v38, -v37
	v_mul_f16_sdwa v40, v48, v38 dst_sel:DWORD dst_unused:UNUSED_PAD src0_sel:DWORD src1_sel:WORD_1
	v_lshlrev_b32_sdwa v48, v8, v55 dst_sel:DWORD dst_unused:UNUSED_PAD src0_sel:DWORD src1_sel:BYTE_2
	global_load_dword v56, v48, s[12:13] offset:2048
	v_fma_f16 v27, v27, v38, v40
	s_waitcnt vmcnt(12)
	v_mul_f16_sdwa v38, v27, v49 dst_sel:DWORD dst_unused:UNUSED_PAD src0_sel:DWORD src1_sel:WORD_1
	v_fma_f16 v38, v49, v37, -v38
	v_mul_f16_sdwa v37, v37, v49 dst_sel:DWORD dst_unused:UNUSED_PAD src0_sel:DWORD src1_sel:WORD_1
	v_fma_f16 v37, v49, v27, v37
	v_mul_f16_e32 v27, v47, v37
	v_fma_f16 v27, v46, v38, v27
	v_mul_f16_e32 v37, v46, v37
	v_add_u32_e32 v46, 0x99, v20
	v_mul_lo_u32 v46, v19, v46
	v_fma_f16 v37, v47, v38, -v37
	s_waitcnt vmcnt(11)
	v_lshrrev_b32_e32 v38, 16, v52
	s_waitcnt vmcnt(10)
	v_mul_f16_sdwa v40, v38, v57 dst_sel:DWORD dst_unused:UNUSED_PAD src0_sel:DWORD src1_sel:WORD_1
	v_lshlrev_b32_sdwa v48, v8, v46 dst_sel:DWORD dst_unused:UNUSED_PAD src0_sel:DWORD src1_sel:BYTE_0
	v_fma_f16 v40, v52, v57, -v40
	v_mul_f16_sdwa v47, v52, v57 dst_sel:DWORD dst_unused:UNUSED_PAD src0_sel:DWORD src1_sel:WORD_1
	v_lshlrev_b32_sdwa v49, v8, v46 dst_sel:DWORD dst_unused:UNUSED_PAD src0_sel:DWORD src1_sel:BYTE_1
	global_load_dword v52, v48, s[12:13]
	global_load_dword v53, v49, s[12:13] offset:1024
	v_lshlrev_b32_sdwa v46, v8, v46 dst_sel:DWORD dst_unused:UNUSED_PAD src0_sel:DWORD src1_sel:BYTE_2
	global_load_dword v51, v46, s[12:13] offset:2048
	v_fma_f16 v38, v38, v57, v47
	s_waitcnt vmcnt(12)
	v_mul_f16_sdwa v47, v38, v58 dst_sel:DWORD dst_unused:UNUSED_PAD src0_sel:DWORD src1_sel:WORD_1
	v_fma_f16 v47, v58, v40, -v47
	v_mul_f16_sdwa v40, v40, v58 dst_sel:DWORD dst_unused:UNUSED_PAD src0_sel:DWORD src1_sel:WORD_1
	v_fma_f16 v40, v58, v38, v40
	v_mul_f16_e32 v38, v41, v40
	v_fma_f16 v38, v39, v47, v38
	v_mul_f16_e32 v39, v39, v40
	s_waitcnt vmcnt(11)
	v_lshrrev_b32_e32 v40, 16, v61
	s_waitcnt vmcnt(10)
	v_mul_f16_sdwa v46, v61, v63 dst_sel:DWORD dst_unused:UNUSED_PAD src0_sel:DWORD src1_sel:WORD_1
	v_fma_f16 v39, v41, v47, -v39
	v_mul_f16_sdwa v41, v40, v63 dst_sel:DWORD dst_unused:UNUSED_PAD src0_sel:DWORD src1_sel:WORD_1
	v_fma_f16 v40, v40, v63, v46
	v_fma_f16 v41, v61, v63, -v41
	s_waitcnt vmcnt(9)
	v_mul_f16_sdwa v46, v40, v54 dst_sel:DWORD dst_unused:UNUSED_PAD src0_sel:DWORD src1_sel:WORD_1
	v_fma_f16 v46, v54, v41, -v46
	v_mul_f16_sdwa v41, v41, v54 dst_sel:DWORD dst_unused:UNUSED_PAD src0_sel:DWORD src1_sel:WORD_1
	v_fma_f16 v41, v54, v40, v41
	v_mul_f16_e32 v40, v45, v41
	v_mul_f16_e32 v41, v43, v41
	v_fma_f16 v40, v43, v46, v40
	v_fma_f16 v41, v45, v46, -v41
	v_add_u32_e32 v46, 0xaa, v20
	v_mul_lo_u32 v47, v19, v46
	s_waitcnt vmcnt(8)
	v_lshrrev_b32_e32 v43, 16, v59
	s_waitcnt vmcnt(7)
	v_mul_f16_sdwa v45, v43, v60 dst_sel:DWORD dst_unused:UNUSED_PAD src0_sel:DWORD src1_sel:WORD_1
	v_fma_f16 v48, v59, v60, -v45
	v_mul_f16_sdwa v45, v59, v60 dst_sel:DWORD dst_unused:UNUSED_PAD src0_sel:DWORD src1_sel:WORD_1
	v_fma_f16 v43, v43, v60, v45
	v_lshlrev_b32_sdwa v49, v8, v47 dst_sel:DWORD dst_unused:UNUSED_PAD src0_sel:DWORD src1_sel:BYTE_0
	v_lshlrev_b32_sdwa v54, v8, v47 dst_sel:DWORD dst_unused:UNUSED_PAD src0_sel:DWORD src1_sel:BYTE_1
	global_load_dword v46, v49, s[12:13]
	global_load_dword v45, v54, s[12:13] offset:1024
	s_waitcnt vmcnt(8)
	v_mul_f16_sdwa v49, v43, v50 dst_sel:DWORD dst_unused:UNUSED_PAD src0_sel:DWORD src1_sel:WORD_1
	v_fma_f16 v49, v50, v48, -v49
	v_mul_f16_sdwa v48, v48, v50 dst_sel:DWORD dst_unused:UNUSED_PAD src0_sel:DWORD src1_sel:WORD_1
	v_fma_f16 v48, v50, v43, v48
	v_mul_f16_e32 v43, v44, v48
	v_fma_f16 v43, v42, v49, v43
	v_mul_f16_e32 v42, v42, v48
	v_fma_f16 v42, v44, v49, -v42
	v_lshlrev_b32_sdwa v44, v8, v47 dst_sel:DWORD dst_unused:UNUSED_PAD src0_sel:DWORD src1_sel:BYTE_2
	v_add_u32_e32 v47, 0xbb, v20
	v_mul_lo_u32 v47, v19, v47
	global_load_dword v44, v44, s[12:13] offset:2048
	s_waitcnt vmcnt(8)
	v_lshrrev_b32_e32 v50, 16, v62
	s_waitcnt vmcnt(7)
	v_mul_f16_sdwa v48, v50, v64 dst_sel:DWORD dst_unused:UNUSED_PAD src0_sel:DWORD src1_sel:WORD_1
	v_lshlrev_b32_sdwa v55, v8, v47 dst_sel:DWORD dst_unused:UNUSED_PAD src0_sel:DWORD src1_sel:BYTE_0
	v_fma_f16 v54, v62, v64, -v48
	v_lshlrev_b32_sdwa v57, v8, v47 dst_sel:DWORD dst_unused:UNUSED_PAD src0_sel:DWORD src1_sel:BYTE_1
	global_load_dword v48, v55, s[12:13]
	global_load_dword v49, v57, s[12:13] offset:1024
	v_mul_f16_sdwa v55, v62, v64 dst_sel:DWORD dst_unused:UNUSED_PAD src0_sel:DWORD src1_sel:WORD_1
	v_lshlrev_b32_sdwa v47, v8, v47 dst_sel:DWORD dst_unused:UNUSED_PAD src0_sel:DWORD src1_sel:BYTE_2
	v_fma_f16 v57, v50, v64, v55
	global_load_dword v50, v47, s[12:13] offset:2048
	v_add_u32_e32 v47, 0xcc, v20
	v_mul_lo_u32 v47, v19, v47
	v_add_f16_e32 v3, v3, v66
	s_waitcnt vmcnt(9)
	v_mul_f16_sdwa v55, v57, v56 dst_sel:DWORD dst_unused:UNUSED_PAD src0_sel:DWORD src1_sel:WORD_1
	v_lshlrev_b32_sdwa v60, v8, v47 dst_sel:DWORD dst_unused:UNUSED_PAD src0_sel:DWORD src1_sel:BYTE_0
	v_fma_f16 v58, v56, v54, -v55
	v_mul_f16_sdwa v59, v54, v56 dst_sel:DWORD dst_unused:UNUSED_PAD src0_sel:DWORD src1_sel:WORD_1
	v_lshlrev_b32_sdwa v61, v8, v47 dst_sel:DWORD dst_unused:UNUSED_PAD src0_sel:DWORD src1_sel:BYTE_1
	global_load_dword v54, v60, s[12:13]
	global_load_dword v55, v61, s[12:13] offset:1024
	v_lshlrev_b32_sdwa v47, v8, v47 dst_sel:DWORD dst_unused:UNUSED_PAD src0_sel:DWORD src1_sel:BYTE_2
	v_fma_f16 v57, v56, v57, v59
	global_load_dword v56, v47, s[12:13] offset:2048
	v_add_u32_e32 v47, 0xdd, v20
	v_mul_lo_u32 v60, v19, v47
	v_mul_f16_e32 v59, v36, v57
	v_fma_f16 v47, v35, v58, v59
	v_mul_f16_e32 v35, v35, v57
	v_fma_f16 v35, v36, v58, -v35
	v_lshlrev_b32_sdwa v36, v8, v60 dst_sel:DWORD dst_unused:UNUSED_PAD src0_sel:DWORD src1_sel:BYTE_0
	v_lshlrev_b32_sdwa v57, v8, v60 dst_sel:DWORD dst_unused:UNUSED_PAD src0_sel:DWORD src1_sel:BYTE_1
	global_load_dword v36, v36, s[12:13]
	v_lshlrev_b32_sdwa v58, v8, v60 dst_sel:DWORD dst_unused:UNUSED_PAD src0_sel:DWORD src1_sel:BYTE_2
	global_load_dword v57, v57, s[12:13] offset:1024
	v_add_u32_e32 v60, 0xee, v20
	global_load_dword v58, v58, s[12:13] offset:2048
	v_mul_lo_u32 v60, v19, v60
	s_waitcnt vmcnt(14)
	v_lshrrev_b32_e32 v59, 16, v52
	s_waitcnt vmcnt(13)
	v_mul_f16_sdwa v61, v59, v53 dst_sel:DWORD dst_unused:UNUSED_PAD src0_sel:DWORD src1_sel:WORD_1
	v_fma_f16 v61, v52, v53, -v61
	v_mul_f16_sdwa v52, v52, v53 dst_sel:DWORD dst_unused:UNUSED_PAD src0_sel:DWORD src1_sel:WORD_1
	v_fma_f16 v52, v59, v53, v52
	v_lshlrev_b32_sdwa v53, v8, v60 dst_sel:DWORD dst_unused:UNUSED_PAD src0_sel:DWORD src1_sel:BYTE_0
	v_lshlrev_b32_sdwa v59, v8, v60 dst_sel:DWORD dst_unused:UNUSED_PAD src0_sel:DWORD src1_sel:BYTE_1
	global_load_dword v62, v53, s[12:13]
	global_load_dword v63, v59, s[12:13] offset:1024
	v_lshlrev_b32_sdwa v59, v8, v60 dst_sel:DWORD dst_unused:UNUSED_PAD src0_sel:DWORD src1_sel:BYTE_2
	v_add_u32_e32 v60, 0xff, v20
	global_load_dword v59, v59, s[12:13] offset:2048
	v_mul_lo_u32 v60, v19, v60
	s_waitcnt vmcnt(15)
	v_mul_f16_sdwa v53, v52, v51 dst_sel:DWORD dst_unused:UNUSED_PAD src0_sel:DWORD src1_sel:WORD_1
	v_fma_f16 v53, v51, v61, -v53
	v_mul_f16_sdwa v61, v61, v51 dst_sel:DWORD dst_unused:UNUSED_PAD src0_sel:DWORD src1_sel:WORD_1
	v_fma_f16 v51, v51, v52, v61
	v_lshlrev_b32_sdwa v61, v8, v60 dst_sel:DWORD dst_unused:UNUSED_PAD src0_sel:DWORD src1_sel:BYTE_0
	v_mul_f16_e32 v52, v29, v51
	v_lshlrev_b32_sdwa v64, v8, v60 dst_sel:DWORD dst_unused:UNUSED_PAD src0_sel:DWORD src1_sel:BYTE_1
	global_load_dword v65, v61, s[12:13]
	global_load_dword v66, v64, s[12:13] offset:1024
	v_fma_f16 v52, v34, v53, v52
	v_mul_f16_e32 v34, v34, v51
	v_lshlrev_b32_sdwa v51, v8, v60 dst_sel:DWORD dst_unused:UNUSED_PAD src0_sel:DWORD src1_sel:BYTE_2
	v_add_u32_e32 v20, 0x110, v20
	global_load_dword v51, v51, s[12:13] offset:2048
	v_mul_lo_u32 v19, v19, v20
	v_fma_f16 v20, v29, v53, -v34
	s_waitcnt vmcnt(17)
	v_lshrrev_b32_e32 v29, 16, v46
	v_lshlrev_b32_sdwa v53, v8, v19 dst_sel:DWORD dst_unused:UNUSED_PAD src0_sel:DWORD src1_sel:BYTE_0
	v_lshlrev_b32_sdwa v60, v8, v19 dst_sel:DWORD dst_unused:UNUSED_PAD src0_sel:DWORD src1_sel:BYTE_1
	global_load_dword v61, v53, s[12:13]
	global_load_dword v64, v60, s[12:13] offset:1024
	v_lshlrev_b32_sdwa v8, v8, v19 dst_sel:DWORD dst_unused:UNUSED_PAD src0_sel:DWORD src1_sel:BYTE_2
	global_load_dword v8, v8, s[12:13] offset:2048
	s_waitcnt vmcnt(19)
	v_mul_f16_sdwa v34, v29, v45 dst_sel:DWORD dst_unused:UNUSED_PAD src0_sel:DWORD src1_sel:WORD_1
	v_fma_f16 v34, v46, v45, -v34
	v_mul_f16_sdwa v46, v46, v45 dst_sel:DWORD dst_unused:UNUSED_PAD src0_sel:DWORD src1_sel:WORD_1
	v_fma_f16 v19, v29, v45, v46
	s_waitcnt vmcnt(0)
	s_barrier
	v_mul_f16_sdwa v29, v19, v44 dst_sel:DWORD dst_unused:UNUSED_PAD src0_sel:DWORD src1_sel:WORD_1
	v_fma_f16 v29, v44, v34, -v29
	v_mul_f16_sdwa v34, v34, v44 dst_sel:DWORD dst_unused:UNUSED_PAD src0_sel:DWORD src1_sel:WORD_1
	v_fma_f16 v19, v44, v19, v34
	v_mul_f16_e32 v34, v25, v19
	v_mul_f16_e32 v19, v24, v19
	v_fma_f16 v34, v24, v29, v34
	v_fma_f16 v19, v25, v29, -v19
	v_lshrrev_b32_e32 v24, 16, v48
	v_mul_f16_sdwa v29, v48, v49 dst_sel:DWORD dst_unused:UNUSED_PAD src0_sel:DWORD src1_sel:WORD_1
	v_mul_f16_sdwa v25, v24, v49 dst_sel:DWORD dst_unused:UNUSED_PAD src0_sel:DWORD src1_sel:WORD_1
	v_fma_f16 v24, v24, v49, v29
	v_fma_f16 v25, v48, v49, -v25
	v_mul_f16_sdwa v29, v24, v50 dst_sel:DWORD dst_unused:UNUSED_PAD src0_sel:DWORD src1_sel:WORD_1
	v_fma_f16 v29, v50, v25, -v29
	v_mul_f16_sdwa v25, v25, v50 dst_sel:DWORD dst_unused:UNUSED_PAD src0_sel:DWORD src1_sel:WORD_1
	v_fma_f16 v24, v50, v24, v25
	v_mul_f16_e32 v25, v23, v24
	v_fma_f16 v25, v22, v29, v25
	v_mul_f16_e32 v22, v22, v24
	v_fma_f16 v22, v23, v29, -v22
	v_lshrrev_b32_e32 v23, 16, v54
	v_mul_f16_sdwa v29, v54, v55 dst_sel:DWORD dst_unused:UNUSED_PAD src0_sel:DWORD src1_sel:WORD_1
	v_mul_f16_sdwa v24, v23, v55 dst_sel:DWORD dst_unused:UNUSED_PAD src0_sel:DWORD src1_sel:WORD_1
	v_fma_f16 v23, v23, v55, v29
	v_fma_f16 v24, v54, v55, -v24
	v_mul_f16_sdwa v29, v23, v56 dst_sel:DWORD dst_unused:UNUSED_PAD src0_sel:DWORD src1_sel:WORD_1
	v_fma_f16 v29, v56, v24, -v29
	v_mul_f16_sdwa v24, v24, v56 dst_sel:DWORD dst_unused:UNUSED_PAD src0_sel:DWORD src1_sel:WORD_1
	v_fma_f16 v23, v56, v23, v24
	v_mul_f16_e32 v24, v10, v23
	v_fma_f16 v24, v9, v29, v24
	v_mul_f16_e32 v9, v9, v23
	;; [unrolled: 13-line block ×6, first 2 shown]
	v_fma_f16 v0, v1, v29, -v0
	v_pack_b32_f16 v1, v28, v11
	v_pack_b32_f16 v3, v21, v32
	ds_write2_b32 v18, v1, v3 offset1:17
	v_pack_b32_f16 v1, v33, v30
	v_pack_b32_f16 v3, v31, v26
	ds_write2_b32 v18, v1, v3 offset0:34 offset1:51
	v_pack_b32_f16 v1, v27, v37
	v_pack_b32_f16 v3, v38, v39
	ds_write2_b32 v18, v1, v3 offset0:68 offset1:85
	;; [unrolled: 3-line block ×6, first 2 shown]
	v_pack_b32_f16 v1, v10, v4
	v_pack_b32_f16 v2, v7, v2
	;; [unrolled: 1-line block ×3, first 2 shown]
	ds_write2_b32 v18, v1, v2 offset0:238 offset1:255
	ds_write_b32 v18, v0 offset:1088
	s_waitcnt lgkmcnt(0)
	s_barrier
	s_and_saveexec_b64 s[4:5], s[0:1]
	s_cbranch_execz .LBB0_16
; %bb.15:
	v_mad_u64_u32 v[0:1], s[0:1], s10, v16, 0
	v_mad_u64_u32 v[2:3], s[0:1], s8, v12, 0
	v_add_u32_e32 v11, 0x44, v12
	v_mad_u64_u32 v[4:5], s[0:1], s11, v16, v[1:2]
	v_mov_b32_e32 v1, v3
	v_mad_u64_u32 v[5:6], s[0:1], s9, v12, v[1:2]
	v_mov_b32_e32 v1, v4
	s_lshl_b64 s[0:1], s[2:3], 2
	v_mul_u32_u24_e32 v4, 0x484, v16
	s_add_u32 s0, s16, s0
	v_lshlrev_b64 v[0:1], 2, v[0:1]
	v_add3_u32 v8, 0, v4, v17
	s_addc_u32 s1, s17, s1
	v_mov_b32_e32 v3, v5
	ds_read2_b32 v[4:5], v8 offset1:17
	v_mov_b32_e32 v6, s1
	v_add_co_u32_e32 v9, vcc, s0, v0
	v_addc_co_u32_e32 v10, vcc, v6, v1, vcc
	v_lshlrev_b64 v[0:1], 2, v[2:3]
	v_mad_u64_u32 v[2:3], s[0:1], s8, v15, 0
	v_add_co_u32_e32 v0, vcc, v9, v0
	v_addc_co_u32_e32 v1, vcc, v10, v1, vcc
	s_waitcnt lgkmcnt(0)
	global_store_dword v[0:1], v4, off
	v_mov_b32_e32 v0, v3
	v_mad_u64_u32 v[0:1], s[0:1], s9, v15, v[0:1]
	v_mad_u64_u32 v[6:7], s[0:1], s8, v14, 0
	v_mov_b32_e32 v3, v0
	v_lshlrev_b64 v[0:1], 2, v[2:3]
	v_mov_b32_e32 v2, v7
	v_mad_u64_u32 v[2:3], s[0:1], s9, v14, v[2:3]
	v_add_co_u32_e32 v0, vcc, v9, v0
	v_addc_co_u32_e32 v1, vcc, v10, v1, vcc
	global_store_dword v[0:1], v5, off
	v_mov_b32_e32 v7, v2
	ds_read2_b32 v[0:1], v8 offset0:34 offset1:51
	v_lshlrev_b64 v[2:3], 2, v[6:7]
	v_mad_u64_u32 v[4:5], s[0:1], s8, v13, 0
	v_add_co_u32_e32 v2, vcc, v9, v2
	v_addc_co_u32_e32 v3, vcc, v10, v3, vcc
	s_waitcnt lgkmcnt(0)
	global_store_dword v[2:3], v0, off
	v_mov_b32_e32 v0, v5
	v_mad_u64_u32 v[2:3], s[0:1], s9, v13, v[0:1]
	v_mad_u64_u32 v[6:7], s[0:1], s8, v11, 0
	v_mov_b32_e32 v5, v2
	v_lshlrev_b64 v[2:3], 2, v[4:5]
	v_mov_b32_e32 v0, v7
	v_mad_u64_u32 v[4:5], s[0:1], s9, v11, v[0:1]
	v_add_co_u32_e32 v2, vcc, v9, v2
	v_addc_co_u32_e32 v3, vcc, v10, v3, vcc
	v_mov_b32_e32 v7, v4
	global_store_dword v[2:3], v1, off
	ds_read2_b32 v[0:1], v8 offset0:68 offset1:85
	v_lshlrev_b64 v[2:3], 2, v[6:7]
	v_add_u32_e32 v6, 0x55, v12
	v_mad_u64_u32 v[4:5], s[0:1], s8, v6, 0
	v_add_co_u32_e32 v2, vcc, v9, v2
	v_addc_co_u32_e32 v3, vcc, v10, v3, vcc
	s_waitcnt lgkmcnt(0)
	global_store_dword v[2:3], v0, off
	v_mov_b32_e32 v0, v5
	v_add_u32_e32 v11, 0x66, v12
	v_mad_u64_u32 v[2:3], s[0:1], s9, v6, v[0:1]
	v_mad_u64_u32 v[6:7], s[0:1], s8, v11, 0
	v_mov_b32_e32 v5, v2
	v_lshlrev_b64 v[2:3], 2, v[4:5]
	v_mov_b32_e32 v0, v7
	v_mad_u64_u32 v[4:5], s[0:1], s9, v11, v[0:1]
	v_add_co_u32_e32 v2, vcc, v9, v2
	v_addc_co_u32_e32 v3, vcc, v10, v3, vcc
	v_mov_b32_e32 v7, v4
	global_store_dword v[2:3], v1, off
	ds_read2_b32 v[0:1], v8 offset0:102 offset1:119
	v_lshlrev_b64 v[2:3], 2, v[6:7]
	v_add_u32_e32 v6, 0x77, v12
	v_mad_u64_u32 v[4:5], s[0:1], s8, v6, 0
	v_add_co_u32_e32 v2, vcc, v9, v2
	v_addc_co_u32_e32 v3, vcc, v10, v3, vcc
	s_waitcnt lgkmcnt(0)
	global_store_dword v[2:3], v0, off
	v_mov_b32_e32 v0, v5
	v_add_u32_e32 v11, 0x88, v12
	;; [unrolled: 20-line block ×6, first 2 shown]
	v_mad_u64_u32 v[2:3], s[0:1], s9, v6, v[0:1]
	v_mad_u64_u32 v[6:7], s[0:1], s8, v11, 0
	v_mov_b32_e32 v5, v2
	v_lshlrev_b64 v[2:3], 2, v[4:5]
	v_mov_b32_e32 v0, v7
	v_mad_u64_u32 v[4:5], s[0:1], s9, v11, v[0:1]
	v_add_co_u32_e32 v2, vcc, v9, v2
	v_addc_co_u32_e32 v3, vcc, v10, v3, vcc
	global_store_dword v[2:3], v1, off
	v_mov_b32_e32 v7, v4
	ds_read_b32 v2, v8 offset:1088
	v_lshlrev_b64 v[0:1], 2, v[6:7]
	v_add_co_u32_e32 v0, vcc, v9, v0
	v_addc_co_u32_e32 v1, vcc, v10, v1, vcc
	s_waitcnt lgkmcnt(0)
	global_store_dword v[0:1], v2, off
.LBB0_16:
	s_endpgm
	.section	.rodata,"a",@progbits
	.p2align	6, 0x0
	.amdhsa_kernel fft_rtc_back_len289_factors_17_17_wgs_119_tpt_17_half_ip_CI_sbcc_twdbase8_3step
		.amdhsa_group_segment_fixed_size 0
		.amdhsa_private_segment_fixed_size 0
		.amdhsa_kernarg_size 96
		.amdhsa_user_sgpr_count 6
		.amdhsa_user_sgpr_private_segment_buffer 1
		.amdhsa_user_sgpr_dispatch_ptr 0
		.amdhsa_user_sgpr_queue_ptr 0
		.amdhsa_user_sgpr_kernarg_segment_ptr 1
		.amdhsa_user_sgpr_dispatch_id 0
		.amdhsa_user_sgpr_flat_scratch_init 0
		.amdhsa_user_sgpr_private_segment_size 0
		.amdhsa_uses_dynamic_stack 0
		.amdhsa_system_sgpr_private_segment_wavefront_offset 0
		.amdhsa_system_sgpr_workgroup_id_x 1
		.amdhsa_system_sgpr_workgroup_id_y 0
		.amdhsa_system_sgpr_workgroup_id_z 0
		.amdhsa_system_sgpr_workgroup_info 0
		.amdhsa_system_vgpr_workitem_id 0
		.amdhsa_next_free_vgpr 86
		.amdhsa_next_free_sgpr 45
		.amdhsa_reserve_vcc 1
		.amdhsa_reserve_flat_scratch 0
		.amdhsa_float_round_mode_32 0
		.amdhsa_float_round_mode_16_64 0
		.amdhsa_float_denorm_mode_32 3
		.amdhsa_float_denorm_mode_16_64 3
		.amdhsa_dx10_clamp 1
		.amdhsa_ieee_mode 1
		.amdhsa_fp16_overflow 0
		.amdhsa_exception_fp_ieee_invalid_op 0
		.amdhsa_exception_fp_denorm_src 0
		.amdhsa_exception_fp_ieee_div_zero 0
		.amdhsa_exception_fp_ieee_overflow 0
		.amdhsa_exception_fp_ieee_underflow 0
		.amdhsa_exception_fp_ieee_inexact 0
		.amdhsa_exception_int_div_zero 0
	.end_amdhsa_kernel
	.text
.Lfunc_end0:
	.size	fft_rtc_back_len289_factors_17_17_wgs_119_tpt_17_half_ip_CI_sbcc_twdbase8_3step, .Lfunc_end0-fft_rtc_back_len289_factors_17_17_wgs_119_tpt_17_half_ip_CI_sbcc_twdbase8_3step
                                        ; -- End function
	.section	.AMDGPU.csdata,"",@progbits
; Kernel info:
; codeLenInByte = 16984
; NumSgprs: 49
; NumVgprs: 86
; ScratchSize: 0
; MemoryBound: 0
; FloatMode: 240
; IeeeMode: 1
; LDSByteSize: 0 bytes/workgroup (compile time only)
; SGPRBlocks: 6
; VGPRBlocks: 21
; NumSGPRsForWavesPerEU: 49
; NumVGPRsForWavesPerEU: 86
; Occupancy: 2
; WaveLimiterHint : 1
; COMPUTE_PGM_RSRC2:SCRATCH_EN: 0
; COMPUTE_PGM_RSRC2:USER_SGPR: 6
; COMPUTE_PGM_RSRC2:TRAP_HANDLER: 0
; COMPUTE_PGM_RSRC2:TGID_X_EN: 1
; COMPUTE_PGM_RSRC2:TGID_Y_EN: 0
; COMPUTE_PGM_RSRC2:TGID_Z_EN: 0
; COMPUTE_PGM_RSRC2:TIDIG_COMP_CNT: 0
	.type	__hip_cuid_778fb6b25977ab06,@object ; @__hip_cuid_778fb6b25977ab06
	.section	.bss,"aw",@nobits
	.globl	__hip_cuid_778fb6b25977ab06
__hip_cuid_778fb6b25977ab06:
	.byte	0                               ; 0x0
	.size	__hip_cuid_778fb6b25977ab06, 1

	.ident	"AMD clang version 19.0.0git (https://github.com/RadeonOpenCompute/llvm-project roc-6.4.0 25133 c7fe45cf4b819c5991fe208aaa96edf142730f1d)"
	.section	".note.GNU-stack","",@progbits
	.addrsig
	.addrsig_sym __hip_cuid_778fb6b25977ab06
	.amdgpu_metadata
---
amdhsa.kernels:
  - .args:
      - .actual_access:  read_only
        .address_space:  global
        .offset:         0
        .size:           8
        .value_kind:     global_buffer
      - .address_space:  global
        .offset:         8
        .size:           8
        .value_kind:     global_buffer
      - .offset:         16
        .size:           8
        .value_kind:     by_value
      - .actual_access:  read_only
        .address_space:  global
        .offset:         24
        .size:           8
        .value_kind:     global_buffer
      - .actual_access:  read_only
        .address_space:  global
        .offset:         32
        .size:           8
        .value_kind:     global_buffer
      - .offset:         40
        .size:           8
        .value_kind:     by_value
      - .actual_access:  read_only
        .address_space:  global
        .offset:         48
        .size:           8
        .value_kind:     global_buffer
      - .actual_access:  read_only
        .address_space:  global
        .offset:         56
        .size:           8
        .value_kind:     global_buffer
      - .offset:         64
        .size:           4
        .value_kind:     by_value
      - .actual_access:  read_only
        .address_space:  global
        .offset:         72
        .size:           8
        .value_kind:     global_buffer
      - .actual_access:  read_only
        .address_space:  global
        .offset:         80
        .size:           8
        .value_kind:     global_buffer
      - .address_space:  global
        .offset:         88
        .size:           8
        .value_kind:     global_buffer
    .group_segment_fixed_size: 0
    .kernarg_segment_align: 8
    .kernarg_segment_size: 96
    .language:       OpenCL C
    .language_version:
      - 2
      - 0
    .max_flat_workgroup_size: 119
    .name:           fft_rtc_back_len289_factors_17_17_wgs_119_tpt_17_half_ip_CI_sbcc_twdbase8_3step
    .private_segment_fixed_size: 0
    .sgpr_count:     49
    .sgpr_spill_count: 0
    .symbol:         fft_rtc_back_len289_factors_17_17_wgs_119_tpt_17_half_ip_CI_sbcc_twdbase8_3step.kd
    .uniform_work_group_size: 1
    .uses_dynamic_stack: false
    .vgpr_count:     86
    .vgpr_spill_count: 0
    .wavefront_size: 64
amdhsa.target:   amdgcn-amd-amdhsa--gfx906
amdhsa.version:
  - 1
  - 2
...

	.end_amdgpu_metadata
